;; amdgpu-corpus repo=ROCm/rocFFT kind=compiled arch=gfx950 opt=O3
	.text
	.amdgcn_target "amdgcn-amd-amdhsa--gfx950"
	.amdhsa_code_object_version 6
	.protected	fft_rtc_back_len1456_factors_13_4_7_2_2_wgs_182_tpt_182_halfLds_sp_ip_CI_unitstride_sbrr_R2C_dirReg ; -- Begin function fft_rtc_back_len1456_factors_13_4_7_2_2_wgs_182_tpt_182_halfLds_sp_ip_CI_unitstride_sbrr_R2C_dirReg
	.globl	fft_rtc_back_len1456_factors_13_4_7_2_2_wgs_182_tpt_182_halfLds_sp_ip_CI_unitstride_sbrr_R2C_dirReg
	.p2align	8
	.type	fft_rtc_back_len1456_factors_13_4_7_2_2_wgs_182_tpt_182_halfLds_sp_ip_CI_unitstride_sbrr_R2C_dirReg,@function
fft_rtc_back_len1456_factors_13_4_7_2_2_wgs_182_tpt_182_halfLds_sp_ip_CI_unitstride_sbrr_R2C_dirReg: ; @fft_rtc_back_len1456_factors_13_4_7_2_2_wgs_182_tpt_182_halfLds_sp_ip_CI_unitstride_sbrr_R2C_dirReg
; %bb.0:
	s_load_dwordx2 s[8:9], s[0:1], 0x50
	s_load_dwordx4 s[4:7], s[0:1], 0x0
	s_load_dwordx2 s[10:11], s[0:1], 0x18
	v_mul_u32_u24_e32 v1, 0x169, v0
	v_add_u32_sdwa v6, s2, v1 dst_sel:DWORD dst_unused:UNUSED_PAD src0_sel:DWORD src1_sel:WORD_1
	v_mov_b32_e32 v4, 0
	s_waitcnt lgkmcnt(0)
	v_cmp_lt_u64_e64 s[2:3], s[6:7], 2
	v_mov_b32_e32 v7, v4
	s_and_b64 vcc, exec, s[2:3]
	v_mov_b64_e32 v[2:3], 0
	s_cbranch_vccnz .LBB0_8
; %bb.1:
	s_load_dwordx2 s[2:3], s[0:1], 0x10
	s_add_u32 s12, s10, 8
	s_addc_u32 s13, s11, 0
	s_mov_b64 s[14:15], 1
	v_mov_b64_e32 v[2:3], 0
	s_waitcnt lgkmcnt(0)
	s_add_u32 s16, s2, 8
	s_addc_u32 s17, s3, 0
.LBB0_2:                                ; =>This Inner Loop Header: Depth=1
	s_load_dwordx2 s[18:19], s[16:17], 0x0
                                        ; implicit-def: $vgpr8_vgpr9
	s_waitcnt lgkmcnt(0)
	v_or_b32_e32 v5, s19, v7
	v_cmp_ne_u64_e32 vcc, 0, v[4:5]
	s_and_saveexec_b64 s[2:3], vcc
	s_xor_b64 s[20:21], exec, s[2:3]
	s_cbranch_execz .LBB0_4
; %bb.3:                                ;   in Loop: Header=BB0_2 Depth=1
	v_cvt_f32_u32_e32 v1, s18
	v_cvt_f32_u32_e32 v5, s19
	s_sub_u32 s2, 0, s18
	s_subb_u32 s3, 0, s19
	v_fmac_f32_e32 v1, 0x4f800000, v5
	v_rcp_f32_e32 v1, v1
	s_nop 0
	v_mul_f32_e32 v1, 0x5f7ffffc, v1
	v_mul_f32_e32 v5, 0x2f800000, v1
	v_trunc_f32_e32 v5, v5
	v_fmac_f32_e32 v1, 0xcf800000, v5
	v_cvt_u32_f32_e32 v5, v5
	v_cvt_u32_f32_e32 v1, v1
	v_mul_lo_u32 v8, s2, v5
	v_mul_hi_u32 v10, s2, v1
	v_mul_lo_u32 v9, s3, v1
	v_add_u32_e32 v10, v10, v8
	v_mul_lo_u32 v12, s2, v1
	v_add_u32_e32 v13, v10, v9
	v_mul_hi_u32 v8, v1, v12
	v_mul_hi_u32 v11, v1, v13
	v_mul_lo_u32 v10, v1, v13
	v_mov_b32_e32 v9, v4
	v_lshl_add_u64 v[8:9], v[8:9], 0, v[10:11]
	v_mul_hi_u32 v11, v5, v12
	v_mul_lo_u32 v12, v5, v12
	v_add_co_u32_e32 v8, vcc, v8, v12
	v_mul_hi_u32 v10, v5, v13
	s_nop 0
	v_addc_co_u32_e32 v8, vcc, v9, v11, vcc
	v_mov_b32_e32 v9, v4
	s_nop 0
	v_addc_co_u32_e32 v11, vcc, 0, v10, vcc
	v_mul_lo_u32 v10, v5, v13
	v_lshl_add_u64 v[8:9], v[8:9], 0, v[10:11]
	v_add_co_u32_e32 v1, vcc, v1, v8
	v_mul_lo_u32 v10, s2, v1
	s_nop 0
	v_addc_co_u32_e32 v5, vcc, v5, v9, vcc
	v_mul_lo_u32 v8, s2, v5
	v_mul_hi_u32 v9, s2, v1
	v_add_u32_e32 v8, v9, v8
	v_mul_lo_u32 v9, s3, v1
	v_add_u32_e32 v12, v8, v9
	v_mul_hi_u32 v14, v5, v10
	v_mul_lo_u32 v15, v5, v10
	v_mul_hi_u32 v9, v1, v12
	v_mul_lo_u32 v8, v1, v12
	v_mul_hi_u32 v10, v1, v10
	v_mov_b32_e32 v11, v4
	v_lshl_add_u64 v[8:9], v[10:11], 0, v[8:9]
	v_add_co_u32_e32 v8, vcc, v8, v15
	v_mul_hi_u32 v13, v5, v12
	s_nop 0
	v_addc_co_u32_e32 v8, vcc, v9, v14, vcc
	v_mul_lo_u32 v10, v5, v12
	s_nop 0
	v_addc_co_u32_e32 v11, vcc, 0, v13, vcc
	v_mov_b32_e32 v9, v4
	v_lshl_add_u64 v[8:9], v[8:9], 0, v[10:11]
	v_add_co_u32_e32 v1, vcc, v1, v8
	v_mul_hi_u32 v10, v6, v1
	s_nop 0
	v_addc_co_u32_e32 v5, vcc, v5, v9, vcc
	v_mad_u64_u32 v[8:9], s[2:3], v6, v5, 0
	v_mov_b32_e32 v11, v4
	v_lshl_add_u64 v[8:9], v[10:11], 0, v[8:9]
	v_mad_u64_u32 v[12:13], s[2:3], v7, v1, 0
	v_add_co_u32_e32 v1, vcc, v8, v12
	v_mad_u64_u32 v[10:11], s[2:3], v7, v5, 0
	s_nop 0
	v_addc_co_u32_e32 v8, vcc, v9, v13, vcc
	v_mov_b32_e32 v9, v4
	s_nop 0
	v_addc_co_u32_e32 v11, vcc, 0, v11, vcc
	v_lshl_add_u64 v[8:9], v[8:9], 0, v[10:11]
	v_mul_lo_u32 v1, s19, v8
	v_mul_lo_u32 v5, s18, v9
	v_mad_u64_u32 v[10:11], s[2:3], s18, v8, 0
	v_add3_u32 v1, v11, v5, v1
	v_sub_u32_e32 v5, v7, v1
	v_mov_b32_e32 v11, s19
	v_sub_co_u32_e32 v14, vcc, v6, v10
	v_lshl_add_u64 v[12:13], v[8:9], 0, 1
	s_nop 0
	v_subb_co_u32_e64 v5, s[2:3], v5, v11, vcc
	v_subrev_co_u32_e64 v10, s[2:3], s18, v14
	v_subb_co_u32_e32 v1, vcc, v7, v1, vcc
	s_nop 0
	v_subbrev_co_u32_e64 v5, s[2:3], 0, v5, s[2:3]
	v_cmp_le_u32_e64 s[2:3], s19, v5
	v_cmp_le_u32_e32 vcc, s19, v1
	s_nop 0
	v_cndmask_b32_e64 v11, 0, -1, s[2:3]
	v_cmp_le_u32_e64 s[2:3], s18, v10
	s_nop 1
	v_cndmask_b32_e64 v10, 0, -1, s[2:3]
	v_cmp_eq_u32_e64 s[2:3], s19, v5
	s_nop 1
	v_cndmask_b32_e64 v5, v11, v10, s[2:3]
	v_lshl_add_u64 v[10:11], v[8:9], 0, 2
	v_cmp_ne_u32_e64 s[2:3], 0, v5
	s_nop 1
	v_cndmask_b32_e64 v5, v13, v11, s[2:3]
	v_cndmask_b32_e64 v11, 0, -1, vcc
	v_cmp_le_u32_e32 vcc, s18, v14
	s_nop 1
	v_cndmask_b32_e64 v13, 0, -1, vcc
	v_cmp_eq_u32_e32 vcc, s19, v1
	s_nop 1
	v_cndmask_b32_e32 v1, v11, v13, vcc
	v_cmp_ne_u32_e32 vcc, 0, v1
	v_cndmask_b32_e64 v1, v12, v10, s[2:3]
	s_nop 0
	v_cndmask_b32_e32 v9, v9, v5, vcc
	v_cndmask_b32_e32 v8, v8, v1, vcc
.LBB0_4:                                ;   in Loop: Header=BB0_2 Depth=1
	s_andn2_saveexec_b64 s[2:3], s[20:21]
	s_cbranch_execz .LBB0_6
; %bb.5:                                ;   in Loop: Header=BB0_2 Depth=1
	v_cvt_f32_u32_e32 v1, s18
	s_sub_i32 s20, 0, s18
	v_rcp_iflag_f32_e32 v1, v1
	s_nop 0
	v_mul_f32_e32 v1, 0x4f7ffffe, v1
	v_cvt_u32_f32_e32 v1, v1
	v_mul_lo_u32 v5, s20, v1
	v_mul_hi_u32 v5, v1, v5
	v_add_u32_e32 v1, v1, v5
	v_mul_hi_u32 v1, v6, v1
	v_mul_lo_u32 v5, v1, s18
	v_sub_u32_e32 v5, v6, v5
	v_add_u32_e32 v8, 1, v1
	v_subrev_u32_e32 v9, s18, v5
	v_cmp_le_u32_e32 vcc, s18, v5
	s_nop 1
	v_cndmask_b32_e32 v5, v5, v9, vcc
	v_cndmask_b32_e32 v1, v1, v8, vcc
	v_add_u32_e32 v8, 1, v1
	v_cmp_le_u32_e32 vcc, s18, v5
	v_mov_b32_e32 v9, v4
	s_nop 0
	v_cndmask_b32_e32 v8, v1, v8, vcc
.LBB0_6:                                ;   in Loop: Header=BB0_2 Depth=1
	s_or_b64 exec, exec, s[2:3]
	v_mad_u64_u32 v[10:11], s[2:3], v8, s18, 0
	s_load_dwordx2 s[2:3], s[12:13], 0x0
	v_mul_lo_u32 v1, v9, s18
	v_mul_lo_u32 v5, v8, s19
	v_add3_u32 v1, v11, v5, v1
	v_sub_co_u32_e32 v5, vcc, v6, v10
	s_add_u32 s14, s14, 1
	s_nop 0
	v_subb_co_u32_e32 v1, vcc, v7, v1, vcc
	s_addc_u32 s15, s15, 0
	s_waitcnt lgkmcnt(0)
	v_mul_lo_u32 v1, s2, v1
	v_mul_lo_u32 v6, s3, v5
	v_mad_u64_u32 v[2:3], s[2:3], s2, v5, v[2:3]
	s_add_u32 s12, s12, 8
	v_add3_u32 v3, v6, v3, v1
	s_addc_u32 s13, s13, 0
	v_mov_b64_e32 v[6:7], s[6:7]
	s_add_u32 s16, s16, 8
	v_cmp_ge_u64_e32 vcc, s[14:15], v[6:7]
	s_addc_u32 s17, s17, 0
	s_cbranch_vccnz .LBB0_9
; %bb.7:                                ;   in Loop: Header=BB0_2 Depth=1
	v_mov_b64_e32 v[6:7], v[8:9]
	s_branch .LBB0_2
.LBB0_8:
	v_mov_b64_e32 v[8:9], v[6:7]
.LBB0_9:
	s_lshl_b64 s[2:3], s[6:7], 3
	s_add_u32 s2, s10, s2
	s_addc_u32 s3, s11, s3
	s_load_dwordx2 s[6:7], s[2:3], 0x0
	s_load_dwordx2 s[10:11], s[0:1], 0x20
	s_mov_b32 s2, 0x1681682
	s_waitcnt lgkmcnt(0)
	v_mul_lo_u32 v1, s6, v9
	v_mul_lo_u32 v4, s7, v8
	v_mad_u64_u32 v[2:3], s[0:1], s6, v8, v[2:3]
	v_add3_u32 v3, v4, v3, v1
	v_mul_hi_u32 v1, v0, s2
	v_mul_u32_u24_e32 v1, 0xb6, v1
	v_sub_u32_e32 v36, v0, v1
	v_cmp_gt_u64_e64 s[0:1], s[10:11], v[8:9]
	v_lshl_add_u64 v[34:35], v[2:3], 3, s[8:9]
	v_lshl_add_u32 v182, v36, 3, 0
	s_and_saveexec_b64 s[2:3], s[0:1]
	s_cbranch_execz .LBB0_11
; %bb.10:
	v_mov_b32_e32 v37, 0
	v_lshl_add_u64 v[0:1], v[36:37], 3, v[34:35]
	v_add_co_u32_e32 v2, vcc, 0x1000, v0
	s_nop 1
	v_addc_co_u32_e32 v3, vcc, 0, v1, vcc
	global_load_dwordx2 v[4:5], v[0:1], off
	global_load_dwordx2 v[6:7], v[0:1], off offset:1456
	global_load_dwordx2 v[8:9], v[0:1], off offset:2912
	;; [unrolled: 1-line block ×3, first 2 shown]
	v_add_co_u32_e32 v0, vcc, 0x2000, v0
	s_nop 1
	v_addc_co_u32_e32 v1, vcc, 0, v1, vcc
	global_load_dwordx2 v[12:13], v[2:3], off offset:1728
	global_load_dwordx2 v[14:15], v[2:3], off offset:3184
	;; [unrolled: 1-line block ×4, first 2 shown]
	v_add_u32_e32 v0, 0xa00, v182
	v_add_u32_e32 v1, 0x1600, v182
	s_waitcnt vmcnt(6)
	ds_write2_b64 v182, v[4:5], v[6:7] offset1:182
	s_waitcnt vmcnt(4)
	ds_write2_b64 v0, v[8:9], v[10:11] offset0:44 offset1:226
	s_waitcnt vmcnt(2)
	ds_write2_b64 v1, v[12:13], v[14:15] offset0:24 offset1:206
	v_add_u32_e32 v0, 0x2000, v182
	s_waitcnt vmcnt(0)
	ds_write2_b64 v0, v[16:17], v[18:19] offset0:68 offset1:250
.LBB0_11:
	s_or_b64 exec, exec, s[2:3]
	v_add_u32_e32 v0, 0x400, v182
	s_waitcnt lgkmcnt(0)
	s_barrier
	ds_read2_b64 v[14:17], v0 offset0:96 offset1:208
	v_add_u32_e32 v0, 0xc00, v182
	ds_read2_b64 v[18:21], v0 offset0:64 offset1:176
	v_add_u32_e32 v0, 0x1400, v182
	ds_read2_b64 v[22:25], v0 offset0:32 offset1:144
	ds_read_b64 v[62:63], v182 offset:10752
	ds_read2_b64 v[10:13], v182 offset1:112
	v_add_u32_e32 v0, 0x1800, v182
	ds_read2_b64 v[26:29], v0 offset0:128 offset1:240
	v_add_u32_e32 v0, 0x2000, v182
	ds_read2_b64 v[30:33], v0 offset0:96 offset1:208
	s_mov_b32 s12, 0x3df6dbef
	s_waitcnt lgkmcnt(2)
	v_pk_add_f32 v[0:1], v[62:63], v[12:13]
	v_pk_add_f32 v[52:53], v[12:13], v[62:63] neg_lo:[0,1] neg_hi:[0,1]
	s_mov_b32 s13, 0x3f116cb1
	s_mov_b32 s19, 0xbf52af12
	v_mov_b32_e32 v40, v53
	v_mov_b32_e32 v41, v1
	s_mov_b32 s48, s19
	s_mov_b32 s49, s13
	;; [unrolled: 1-line block ×3, first 2 shown]
	v_pk_mul_f32 v[76:77], v[40:41], s[48:49]
	v_mov_b32_e32 v96, v0
	v_mov_b32_e32 v97, v52
	s_mov_b32 s8, s13
	s_mov_b32 s9, s19
	;; [unrolled: 1-line block ×4, first 2 shown]
	s_waitcnt lgkmcnt(0)
	v_pk_add_f32 v[44:45], v[32:33], v[14:15]
	v_pk_add_f32 v[54:55], v[14:15], v[32:33] neg_lo:[0,1] neg_hi:[0,1]
	v_pk_fma_f32 v[68:69], v[96:97], s[8:9], v[76:77]
	v_pk_fma_f32 v[72:73], v[96:97], s[8:9], v[76:77] neg_lo:[0,0,1] neg_hi:[0,0,1]
	v_mul_f32_e32 v9, 0xbf6f5d39, v53
	v_pk_add_f32 v[56:57], v[16:17], v[30:31] neg_lo:[0,1] neg_hi:[0,1]
	v_mov_b32_e32 v73, v69
	v_mov_b32_e32 v132, v55
	;; [unrolled: 1-line block ×3, first 2 shown]
	s_mov_b32 s42, s41
	s_mov_b32 s43, s7
	;; [unrolled: 1-line block ×3, first 2 shown]
	v_mul_f32_e32 v37, 0xbeedf032, v53
	v_fma_f32 v74, v0, s7, -v9
	v_pk_add_f32 v[42:43], v[30:31], v[16:17]
	v_mov_b32_e32 v2, v57
	v_mov_b32_e32 v3, v55
	s_mov_b32 s18, 0xbf7e222b
	v_pk_add_f32 v[78:79], v[10:11], v[72:73]
	v_pk_mul_f32 v[72:73], v[132:133], s[42:43]
	v_mov_b32_e32 v108, v44
	v_mov_b32_e32 v109, v54
	s_mov_b32 s10, s7
	s_mov_b32 s11, s41
	;; [unrolled: 1-line block ×3, first 2 shown]
	v_fma_f32 v8, v0, s2, -v37
	v_mov_b32_e32 v88, v42
	v_mov_b32_e32 v89, v44
	v_pk_mul_f32 v[82:83], v[2:3], s[18:19]
	s_mov_b32 s14, 0xbf788fa5
	v_add_f32_e32 v69, v10, v74
	v_pk_fma_f32 v[74:75], v[108:109], s[10:11], v[72:73]
	v_pk_fma_f32 v[80:81], v[108:109], s[10:11], v[72:73] neg_lo:[0,0,1] neg_hi:[0,0,1]
	v_pk_fma_f32 v[4:5], v[88:89], s[12:13], v[82:83] neg_lo:[0,0,1] neg_hi:[0,0,1]
	s_mov_b32 s50, 0xbe750f2a
	v_add_f32_e32 v8, v10, v8
	v_mov_b32_e32 v81, v75
	v_mov_b32_e32 v136, v57
	;; [unrolled: 1-line block ×3, first 2 shown]
	s_mov_b32 s51, s14
	s_mov_b32 s21, 0x3f29c268
	;; [unrolled: 1-line block ×3, first 2 shown]
	v_add_f32_e32 v5, v5, v8
	v_pk_add_f32 v[84:85], v[80:81], v[78:79]
	v_pk_mul_f32 v[78:79], v[136:137], s[50:51]
	v_mov_b32_e32 v122, v42
	v_mov_b32_e32 v123, v56
	s_mov_b32 s22, s14
	s_mov_b32 s23, s50
	v_pk_mul_f32 v[66:67], v[2:3], s[20:21]
	v_pk_add_f32 v[48:49], v[28:29], v[18:19]
	v_pk_add_f32 v[58:59], v[18:19], v[28:29] neg_lo:[0,1] neg_hi:[0,1]
	v_add_f32_e32 v8, v4, v5
	v_pk_fma_f32 v[80:81], v[122:123], s[22:23], v[78:79]
	v_pk_fma_f32 v[4:5], v[122:123], s[22:23], v[78:79] neg_lo:[0,0,1] neg_hi:[0,0,1]
	v_pk_fma_f32 v[2:3], v[88:89], s[2:3], v[66:67] neg_lo:[0,0,1] neg_hi:[0,0,1]
	v_mov_b32_e32 v5, v81
	v_mov_b32_e32 v140, v59
	;; [unrolled: 1-line block ×3, first 2 shown]
	s_mov_b32 s24, s21
	s_mov_b32 s25, s3
	v_pk_add_f32 v[46:47], v[26:27], v[20:21]
	v_pk_add_f32 v[60:61], v[20:21], v[26:27] neg_lo:[0,1] neg_hi:[0,1]
	v_add_f32_e32 v3, v3, v69
	v_pk_add_f32 v[4:5], v[4:5], v[84:85]
	v_pk_mul_f32 v[84:85], v[140:141], s[24:25]
	v_mov_b32_e32 v124, v48
	v_mov_b32_e32 v125, v58
	s_mov_b32 s26, s3
	s_mov_b32 s27, s21
	v_add_f32_e32 v69, v2, v3
	v_pk_fma_f32 v[86:87], v[124:125], s[26:27], v[84:85]
	v_pk_fma_f32 v[2:3], v[124:125], s[26:27], v[84:85] neg_lo:[0,0,1] neg_hi:[0,0,1]
	v_mov_b32_e32 v144, v61
	v_mov_b32_e32 v145, v47
	s_mov_b32 s54, 0x3f7e222b
	s_mov_b32 s55, s12
	v_mov_b32_e32 v6, v61
	v_mov_b32_e32 v7, v59
	s_mov_b32 s30, 0x3e750f2a
	s_mov_b32 s31, s18
	v_mov_b32_e32 v3, v87
	v_pk_mul_f32 v[90:91], v[144:145], s[54:55]
	v_mov_b32_e32 v126, v46
	v_mov_b32_e32 v127, v60
	s_mov_b32 s24, s12
	s_mov_b32 s25, s54
	v_mov_b32_e32 v102, v46
	v_mov_b32_e32 v103, v48
	s_mov_b32 s15, s12
	v_pk_mul_f32 v[70:71], v[6:7], s[30:31]
	v_pk_add_f32 v[2:3], v[2:3], v[4:5]
	v_pk_fma_f32 v[94:95], v[126:127], s[24:25], v[90:91]
	v_pk_fma_f32 v[4:5], v[126:127], s[24:25], v[90:91] neg_lo:[0,0,1] neg_hi:[0,0,1]
	s_mov_b32 s34, s18
	s_mov_b32 s35, s12
	;; [unrolled: 1-line block ×3, first 2 shown]
	v_pk_mul_f32 v[92:93], v[6:7], s[40:41]
	v_pk_fma_f32 v[6:7], v[102:103], s[14:15], v[70:71] neg_lo:[0,0,1] neg_hi:[0,0,1]
	v_mov_b32_e32 v5, v95
	v_pk_mul_f32 v[98:99], v[40:41], s[34:35]
	s_mov_b32 s34, s12
	s_mov_b32 s35, s18
	v_pk_fma_f32 v[38:39], v[102:103], s[6:7], v[92:93] neg_lo:[0,0,1] neg_hi:[0,0,1]
	v_add_f32_e32 v7, v7, v69
	v_pk_add_f32 v[2:3], v[4:5], v[2:3]
	v_pk_fma_f32 v[100:101], v[96:97], s[34:35], v[98:99]
	v_pk_fma_f32 v[4:5], v[96:97], s[34:35], v[98:99] neg_lo:[0,0,1] neg_hi:[0,0,1]
	v_pk_mul_f32 v[106:107], v[132:133], s[50:51]
	s_mov_b32 s38, 0x3f6f5d39
	s_mov_b32 s39, s7
	v_add_f32_e32 v8, v39, v8
	v_add_f32_e32 v157, v6, v7
	s_mov_b32 s52, s20
	s_mov_b32 s53, s2
	v_mov_b32_e32 v5, v101
	v_pk_fma_f32 v[104:105], v[108:109], s[22:23], v[106:107]
	v_pk_fma_f32 v[6:7], v[108:109], s[22:23], v[106:107] neg_lo:[0,0,1] neg_hi:[0,0,1]
	v_pk_mul_f32 v[110:111], v[136:137], s[38:39]
	s_mov_b32 s36, s7
	s_mov_b32 s37, s38
	;; [unrolled: 1-line block ×5, first 2 shown]
	v_add_f32_e32 v8, v38, v8
	s_mov_b32 s28, s2
	s_mov_b32 s29, s20
	v_mov_b32_e32 v7, v105
	v_pk_fma_f32 v[112:113], v[122:123], s[36:37], v[110:111]
	v_pk_fma_f32 v[38:39], v[122:123], s[36:37], v[110:111] neg_lo:[0,0,1] neg_hi:[0,0,1]
	v_pk_mul_f32 v[116:117], v[140:141], s[52:53]
	v_pk_add_f32 v[4:5], v[10:11], v[4:5]
	v_pk_mul_f32 v[166:167], v[0:1], s[46:47] op_sel:[1,0]
	s_mov_b32 s16, s41
	s_mov_b32 s46, s3
	;; [unrolled: 1-line block ×3, first 2 shown]
	v_mov_b32_e32 v39, v113
	v_pk_fma_f32 v[114:115], v[124:125], s[28:29], v[116:117]
	v_pk_fma_f32 v[128:129], v[124:125], s[28:29], v[116:117] neg_lo:[0,0,1] neg_hi:[0,0,1]
	v_pk_mul_f32 v[120:121], v[144:145], s[48:49]
	v_pk_add_f32 v[4:5], v[6:7], v[4:5]
	v_pk_fma_f32 v[6:7], v[52:53], s[16:17], v[166:167] op_sel_hi:[0,1,1]
	v_pk_mul_f32 v[162:163], v[44:45], s[46:47] op_sel:[1,0]
	s_mov_b32 s46, s21
	s_mov_b32 s47, s19
	;; [unrolled: 1-line block ×4, first 2 shown]
	v_mov_b32_e32 v129, v115
	v_pk_fma_f32 v[118:119], v[126:127], s[8:9], v[120:121]
	v_pk_fma_f32 v[130:131], v[126:127], s[8:9], v[120:121] neg_lo:[0,0,1] neg_hi:[0,0,1]
	v_pk_add_f32 v[4:5], v[38:39], v[4:5]
	v_pk_fma_f32 v[38:39], v[54:55], s[46:47], v[162:163] op_sel_hi:[0,1,1]
	v_pk_mul_f32 v[168:169], v[42:43], s[58:59] op_sel:[1,0]
	s_mov_b32 s21, s18
	s_mov_b32 s58, s12
	;; [unrolled: 1-line block ×3, first 2 shown]
	v_pk_add_f32 v[6:7], v[10:11], v[6:7] op_sel:[1,0]
	v_mov_b32_e32 v131, v119
	v_pk_add_f32 v[4:5], v[128:129], v[4:5]
	v_pk_fma_f32 v[128:129], v[56:57], s[20:21], v[168:169] op_sel_hi:[0,1,1]
	v_pk_mul_f32 v[164:165], v[48:49], s[58:59] op_sel:[1,0]
	s_mov_b32 s19, s41
	s_mov_b32 s58, s14
	;; [unrolled: 1-line block ×3, first 2 shown]
	v_pk_add_f32 v[6:7], v[38:39], v[6:7]
	v_pk_add_f32 v[50:51], v[24:25], v[22:23]
	v_pk_add_f32 v[4:5], v[130:131], v[4:5]
	s_mov_b32 s56, s40
	s_mov_b32 s39, s40
	v_pk_fma_f32 v[130:131], v[58:59], s[18:19], v[164:165] op_sel_hi:[0,1,1]
	v_pk_mul_f32 v[172:173], v[46:47], s[58:59] op_sel:[1,0]
	s_mov_b32 s31, s40
	v_pk_add_f32 v[6:7], v[128:129], v[6:7]
	s_mov_b32 s40, s13
	s_mov_b32 s41, s14
	v_pk_add_f32 v[64:65], v[22:23], v[24:25] neg_lo:[0,1] neg_hi:[0,1]
	s_mov_b32 s57, s3
	s_mov_b32 s44, 0x3f52af12
	v_pk_fma_f32 v[134:135], v[60:61], s[30:31], v[172:173] op_sel_hi:[0,1,1]
	v_pk_add_f32 v[6:7], v[130:131], v[6:7]
	v_pk_mul_f32 v[176:177], v[50:51], s[40:41] op_sel:[1,0]
	s_mov_b32 s45, s50
	s_mov_b32 s38, s3
	v_pk_add_f32 v[6:7], v[134:135], v[6:7]
	v_pk_fma_f32 v[38:39], v[64:65], s[44:45], v[176:177] op_sel_hi:[0,1,1]
	v_pk_mul_f32 v[130:131], v[40:41], s[56:57]
	v_pk_add_f32 v[38:39], v[38:39], v[6:7]
	v_pk_fma_f32 v[6:7], v[96:97], s[38:39], v[130:131] neg_lo:[0,0,1] neg_hi:[0,0,1]
	v_pk_fma_f32 v[128:129], v[96:97], s[38:39], v[130:131]
	v_pk_mul_f32 v[134:135], v[132:133], s[54:55]
	v_mov_b32_e32 v7, v129
	v_pk_fma_f32 v[40:41], v[108:109], s[24:25], v[134:135] neg_lo:[0,0,1] neg_hi:[0,0,1]
	v_pk_fma_f32 v[132:133], v[108:109], s[24:25], v[134:135]
	v_pk_mul_f32 v[138:139], v[136:137], s[48:49]
	s_mov_b32 s40, s30
	v_mov_b32_e32 v41, v133
	v_pk_fma_f32 v[146:147], v[122:123], s[8:9], v[138:139] neg_lo:[0,0,1] neg_hi:[0,0,1]
	v_pk_fma_f32 v[136:137], v[122:123], s[8:9], v[138:139]
	v_pk_mul_f32 v[140:141], v[140:141], s[40:41]
	s_mov_b32 s40, s14
	s_mov_b32 s41, s30
	v_pk_add_f32 v[6:7], v[10:11], v[6:7]
	v_mov_b32_e32 v147, v137
	v_pk_fma_f32 v[150:151], v[124:125], s[40:41], v[140:141] neg_lo:[0,0,1] neg_hi:[0,0,1]
	v_pk_add_f32 v[6:7], v[40:41], v[6:7]
	v_pk_fma_f32 v[142:143], v[124:125], s[40:41], v[140:141]
	v_pk_mul_f32 v[144:145], v[144:145], s[52:53]
	v_mov_b32_e32 v148, v65
	v_mov_b32_e32 v149, v51
	;; [unrolled: 1-line block ×3, first 2 shown]
	v_pk_add_f32 v[6:7], v[146:147], v[6:7]
	v_pk_fma_f32 v[40:41], v[126:127], s[28:29], v[144:145] neg_lo:[0,0,1] neg_hi:[0,0,1]
	v_pk_fma_f32 v[146:147], v[126:127], s[28:29], v[144:145]
	v_pk_add_f32 v[6:7], v[150:151], v[6:7]
	v_mov_b32_e32 v41, v147
	v_mov_b32_e32 v170, v50
	;; [unrolled: 1-line block ×3, first 2 shown]
	v_pk_mul_f32 v[160:161], v[148:149], s[52:53]
	v_pk_mul_f32 v[154:155], v[148:149], s[56:57]
	;; [unrolled: 1-line block ×3, first 2 shown]
	v_pk_add_f32 v[178:179], v[40:41], v[6:7]
	v_pk_fma_f32 v[158:159], v[170:171], s[28:29], v[160:161]
	v_pk_fma_f32 v[6:7], v[170:171], s[28:29], v[160:161] neg_lo:[0,0,1] neg_hi:[0,0,1]
	v_pk_fma_f32 v[152:153], v[170:171], s[38:39], v[154:155]
	v_pk_fma_f32 v[40:41], v[170:171], s[38:39], v[154:155] neg_lo:[0,0,1] neg_hi:[0,0,1]
	v_pk_fma_f32 v[180:181], v[170:171], s[10:11], v[150:151] neg_lo:[0,0,1] neg_hi:[0,0,1]
	v_pk_fma_f32 v[148:149], v[170:171], s[10:11], v[150:151]
	s_movk_i32 s33, 0x6f
	v_mul_f32_e32 v174, 0xbe750f2a, v65
	v_mul_f32_e32 v156, 0x3f52af12, v65
	v_mov_b32_e32 v7, v159
	v_mov_b32_e32 v41, v153
	;; [unrolled: 1-line block ×3, first 2 shown]
	v_cmp_lt_u32_e32 vcc, s33, v36
	v_fma_f32 v183, v50, s14, -v174
	v_fma_f32 v175, v50, s13, -v156
	s_barrier
	s_and_saveexec_b64 s[42:43], vcc
	s_xor_b64 s[42:43], exec, s[42:43]
; %bb.12:
                                        ; implicit-def: $vgpr62_vgpr63
                                        ; implicit-def: $vgpr0_vgpr1
                                        ; implicit-def: $vgpr52_vgpr53
                                        ; implicit-def: $vgpr37
                                        ; implicit-def: $vgpr9
                                        ; implicit-def: $vgpr44_vgpr45
                                        ; implicit-def: $vgpr54_vgpr55
                                        ; implicit-def: $vgpr42_vgpr43
                                        ; implicit-def: $vgpr56_vgpr57
                                        ; implicit-def: $vgpr82_vgpr83
                                        ; implicit-def: $vgpr66_vgpr67
                                        ; implicit-def: $vgpr48_vgpr49
                                        ; implicit-def: $vgpr58_vgpr59
                                        ; implicit-def: $vgpr46_vgpr47
                                        ; implicit-def: $vgpr60_vgpr61
                                        ; implicit-def: $vgpr92_vgpr93
                                        ; implicit-def: $vgpr70_vgpr71
                                        ; implicit-def: $vgpr50_vgpr51
                                        ; implicit-def: $vgpr64_vgpr65
                                        ; implicit-def: $vgpr174
                                        ; implicit-def: $vgpr10_vgpr11
                                        ; implicit-def: $vgpr76_vgpr77
                                        ; implicit-def: $vgpr68_vgpr69
                                        ; implicit-def: $vgpr72_vgpr73
                                        ; implicit-def: $vgpr74_vgpr75
                                        ; implicit-def: $vgpr78_vgpr79
                                        ; implicit-def: $vgpr80_vgpr81
                                        ; implicit-def: $vgpr84_vgpr85
                                        ; implicit-def: $vgpr86_vgpr87
                                        ; implicit-def: $vgpr90_vgpr91
                                        ; implicit-def: $vgpr94_vgpr95
                                        ; implicit-def: $vgpr160_vgpr161
                                        ; implicit-def: $vgpr158_vgpr159
                                        ; implicit-def: $vgpr98_vgpr99
                                        ; implicit-def: $vgpr100_vgpr101
                                        ; implicit-def: $vgpr106_vgpr107
                                        ; implicit-def: $vgpr104_vgpr105
                                        ; implicit-def: $vgpr110_vgpr111
                                        ; implicit-def: $vgpr112_vgpr113
                                        ; implicit-def: $vgpr116_vgpr117
                                        ; implicit-def: $vgpr114_vgpr115
                                        ; implicit-def: $vgpr120_vgpr121
                                        ; implicit-def: $vgpr118_vgpr119
                                        ; implicit-def: $vgpr154_vgpr155
                                        ; implicit-def: $vgpr152_vgpr153
                                        ; implicit-def: $vgpr156
                                        ; implicit-def: $vgpr166_vgpr167
                                        ; implicit-def: $vgpr162_vgpr163
                                        ; implicit-def: $vgpr168_vgpr169
                                        ; implicit-def: $vgpr164_vgpr165
                                        ; implicit-def: $vgpr172_vgpr173
                                        ; implicit-def: $vgpr176_vgpr177
                                        ; implicit-def: $vgpr130_vgpr131
                                        ; implicit-def: $vgpr128_vgpr129
                                        ; implicit-def: $vgpr134_vgpr135
                                        ; implicit-def: $vgpr132_vgpr133
                                        ; implicit-def: $vgpr138_vgpr139
                                        ; implicit-def: $vgpr136_vgpr137
                                        ; implicit-def: $vgpr140_vgpr141
                                        ; implicit-def: $vgpr142_vgpr143
                                        ; implicit-def: $vgpr144_vgpr145
                                        ; implicit-def: $vgpr146_vgpr147
                                        ; implicit-def: $vgpr150_vgpr151
                                        ; implicit-def: $vgpr148_vgpr149
                                        ; implicit-def: $vgpr170_vgpr171
                                        ; implicit-def: $vgpr126_vgpr127
                                        ; implicit-def: $vgpr124_vgpr125
                                        ; implicit-def: $vgpr122_vgpr123
                                        ; implicit-def: $vgpr108_vgpr109
                                        ; implicit-def: $vgpr96_vgpr97
                                        ; implicit-def: $vgpr102_vgpr103
                                        ; implicit-def: $vgpr88_vgpr89
                                        ; implicit-def: $vgpr14_vgpr15_vgpr16_vgpr17
                                        ; implicit-def: $vgpr18_vgpr19_vgpr20_vgpr21
                                        ; implicit-def: $vgpr22_vgpr23_vgpr24_vgpr25
                                        ; implicit-def: $vgpr26_vgpr27_vgpr28_vgpr29
                                        ; implicit-def: $vgpr30_vgpr31_vgpr32_vgpr33
; %bb.13:
	s_or_saveexec_b64 s[42:43], s[42:43]
	v_add_f32_e32 v8, v183, v8
	v_pk_add_f32 v[6:7], v[6:7], v[2:3]
	v_pk_add_f32 v[4:5], v[40:41], v[4:5]
	v_add_f32_e32 v40, v175, v157
	v_pk_add_f32 v[2:3], v[180:181], v[178:179]
	s_xor_b64 exec, exec, s[42:43]
	s_cbranch_execz .LBB0_15
; %bb.14:
	v_pk_add_f32 v[12:13], v[10:11], v[12:13]
	s_nop 0
	v_pk_add_f32 v[12:13], v[12:13], v[14:15]
	v_pk_mul_f32 v[14:15], v[60:61], s[30:31] op_sel_hi:[0,1]
	v_pk_add_f32 v[12:13], v[12:13], v[16:17]
	v_pk_add_f32 v[14:15], v[172:173], v[14:15] neg_lo:[0,1] neg_hi:[0,1]
	v_pk_add_f32 v[12:13], v[12:13], v[18:19]
	v_mov_b32_e32 v19, v166
	v_pk_add_f32 v[12:13], v[12:13], v[20:21]
	v_pk_mul_f32 v[20:21], v[52:53], s[16:17] op_sel_hi:[0,1]
	v_pk_add_f32 v[12:13], v[12:13], v[22:23]
	v_pk_mul_f32 v[22:23], v[54:55], s[46:47] op_sel_hi:[0,1]
	v_pk_add_f32 v[12:13], v[12:13], v[24:25]
	v_mov_b32_e32 v166, v163
	v_mov_b32_e32 v25, v20
	;; [unrolled: 1-line block ×3, first 2 shown]
	v_pk_add_f32 v[20:21], v[166:167], v[20:21] neg_lo:[0,1] neg_hi:[0,1]
	v_pk_add_f32 v[12:13], v[12:13], v[26:27]
	v_pk_add_f32 v[26:27], v[10:11], v[20:21]
	;; [unrolled: 1-line block ×3, first 2 shown]
	v_mov_b32_e32 v18, v27
	v_pk_mul_f32 v[26:27], v[56:57], s[20:21] op_sel_hi:[0,1]
	v_pk_mul_f32 v[28:29], v[58:59], s[18:19] op_sel_hi:[0,1]
	v_pk_add_f32 v[12:13], v[12:13], v[30:31]
	v_mov_b32_e32 v23, v168
	v_mov_b32_e32 v168, v165
	v_mov_b32_e32 v31, v26
	v_mov_b32_e32 v26, v29
	v_pk_add_f32 v[26:27], v[168:169], v[26:27] neg_lo:[0,1] neg_hi:[0,1]
	v_pk_add_f32 v[20:21], v[20:21], v[18:19]
	v_mov_b32_e32 v18, v27
	v_pk_add_f32 v[20:21], v[18:19], v[20:21]
	v_mul_f32_e32 v18, 0x3f62ad3f, v0
	v_pk_add_f32 v[20:21], v[26:27], v[20:21]
	v_pk_mul_f32 v[26:27], v[88:89], s[12:13]
	v_add_f32_e32 v18, v18, v37
	v_pk_add_f32 v[26:27], v[26:27], v[82:83]
	v_add_f32_e32 v18, v10, v18
	v_add_f32_e32 v18, v27, v18
	;; [unrolled: 1-line block ×3, first 2 shown]
	v_pk_mul_f32 v[26:27], v[102:103], s[6:7]
	v_mov_b32_e32 v21, v15
	v_pk_add_f32 v[26:27], v[26:27], v[92:93]
	v_mov_b32_e32 v24, v22
	v_add_f32_e32 v15, v27, v18
	v_mov_b32_e32 v18, v162
	v_pk_add_f32 v[18:19], v[18:19], v[24:25] neg_lo:[0,1] neg_hi:[0,1]
	v_pk_mul_f32 v[16:17], v[64:65], s[44:45] op_sel_hi:[0,1]
	v_pk_add_f32 v[24:25], v[10:11], v[18:19]
	v_pk_add_f32 v[16:17], v[176:177], v[16:17] neg_lo:[0,1] neg_hi:[0,1]
	v_mov_b32_e32 v22, v25
	v_mov_b32_e32 v175, v20
	v_mul_f32_e32 v20, 0xbf788fa5, v50
	v_pk_add_f32 v[18:19], v[18:19], v[22:23]
	v_mov_b32_e32 v22, v164
	v_mov_b32_e32 v30, v28
	v_pk_add_f32 v[12:13], v[12:13], v[32:33]
	v_pk_add_f32 v[20:21], v[20:21], v[174:175]
	v_add_f32_e32 v26, v26, v15
	v_mov_b32_e32 v27, v17
	s_movk_i32 s6, 0x60
	v_pk_add_f32 v[22:23], v[22:23], v[30:31] neg_lo:[0,1] neg_hi:[0,1]
	v_pk_add_f32 v[12:13], v[12:13], v[62:63]
	v_pk_add_f32 v[20:21], v[20:21], v[26:27]
	v_mad_u32_u24 v37, v36, s6, v182
	v_mul_f32_e32 v15, 0xbeb58ec6, v0
	v_mov_b32_e32 v30, v23
	ds_write2_b64 v37, v[12:13], v[20:21] offset1:1
	v_pk_mul_f32 v[12:13], v[88:89], s[2:3]
	v_pk_mul_f32 v[28:29], v[126:127], s[24:25]
	v_pk_add_f32 v[18:19], v[30:31], v[18:19]
	v_add_f32_e32 v9, v15, v9
	v_pk_mul_f32 v[26:27], v[96:97], s[8:9]
	v_pk_mul_f32 v[30:31], v[170:171], s[28:29]
	v_pk_add_f32 v[18:19], v[22:23], v[18:19]
	v_pk_mul_f32 v[22:23], v[96:97], s[34:35]
	v_pk_add_f32 v[12:13], v[12:13], v[66:67]
	v_add_f32_e32 v9, v10, v9
	v_pk_add_f32 v[28:29], v[90:91], v[28:29] neg_lo:[0,1] neg_hi:[0,1]
	v_pk_mul_f32 v[32:33], v[108:109], s[10:11]
	v_pk_mul_f32 v[66:67], v[108:109], s[22:23]
	v_add_f32_e32 v9, v13, v9
	v_pk_add_f32 v[26:27], v[76:77], v[26:27] neg_lo:[0,1] neg_hi:[0,1]
	v_mov_b32_e32 v95, v29
	v_pk_add_f32 v[28:29], v[160:161], v[30:31] neg_lo:[0,1] neg_hi:[0,1]
	v_pk_add_f32 v[22:23], v[98:99], v[22:23] neg_lo:[0,1] neg_hi:[0,1]
	v_pk_mul_f32 v[24:25], v[122:123], s[22:23]
	v_add_f32_e32 v9, v12, v9
	v_pk_mul_f32 v[12:13], v[122:123], s[36:37]
	v_mov_b32_e32 v69, v27
	v_pk_add_f32 v[32:33], v[72:73], v[32:33] neg_lo:[0,1] neg_hi:[0,1]
	v_mov_b32_e32 v159, v29
	v_mov_b32_e32 v101, v23
	v_pk_add_f32 v[28:29], v[106:107], v[66:67] neg_lo:[0,1] neg_hi:[0,1]
	v_pk_mul_f32 v[20:21], v[102:103], s[14:15]
	v_pk_mul_f32 v[88:89], v[96:97], s[38:39]
	v_pk_add_f32 v[68:69], v[10:11], v[68:69]
	v_mov_b32_e32 v75, v33
	v_pk_add_f32 v[24:25], v[78:79], v[24:25] neg_lo:[0,1] neg_hi:[0,1]
	v_pk_add_f32 v[22:23], v[10:11], v[100:101]
	v_mov_b32_e32 v105, v29
	v_pk_add_f32 v[12:13], v[110:111], v[12:13] neg_lo:[0,1] neg_hi:[0,1]
	v_pk_mul_f32 v[62:63], v[124:125], s[26:27]
	v_pk_add_f32 v[20:21], v[20:21], v[70:71]
	v_pk_mul_f32 v[70:71], v[124:125], s[28:29]
	v_pk_mul_f32 v[92:93], v[108:109], s[24:25]
	v_pk_add_f32 v[32:33], v[74:75], v[68:69]
	v_mov_b32_e32 v81, v25
	v_pk_add_f32 v[22:23], v[104:105], v[22:23]
	v_mov_b32_e32 v113, v13
	v_mov_b32_e32 v27, v14
	v_pk_add_f32 v[14:15], v[130:131], v[88:89] neg_lo:[0,1] neg_hi:[0,1]
	v_add_f32_e32 v9, v21, v9
	v_pk_mul_f32 v[82:83], v[126:127], s[8:9]
	v_pk_mul_f32 v[96:97], v[122:123], s[8:9]
	v_pk_add_f32 v[24:25], v[80:81], v[32:33]
	v_pk_add_f32 v[32:33], v[84:85], v[62:63] neg_lo:[0,1] neg_hi:[0,1]
	v_pk_add_f32 v[12:13], v[112:113], v[22:23]
	v_pk_add_f32 v[22:23], v[116:117], v[70:71] neg_lo:[0,1] neg_hi:[0,1]
	v_mov_b32_e32 v21, v16
	v_mov_b32_e32 v129, v15
	v_pk_add_f32 v[16:17], v[134:135], v[92:93] neg_lo:[0,1] neg_hi:[0,1]
	v_pk_mul_f32 v[76:77], v[170:171], s[38:39]
	v_pk_mul_f32 v[102:103], v[124:125], s[40:41]
	v_mov_b32_e32 v87, v33
	v_mov_b32_e32 v115, v23
	v_pk_add_f32 v[22:23], v[120:121], v[82:83] neg_lo:[0,1] neg_hi:[0,1]
	v_pk_add_f32 v[14:15], v[10:11], v[128:129]
	v_mov_b32_e32 v133, v17
	v_pk_add_f32 v[16:17], v[138:139], v[96:97] neg_lo:[0,1] neg_hi:[0,1]
	v_pk_mul_f32 v[108:109], v[126:127], s[28:29]
	v_pk_add_f32 v[24:25], v[86:87], v[24:25]
	v_pk_add_f32 v[12:13], v[114:115], v[12:13]
	v_mov_b32_e32 v119, v23
	v_pk_add_f32 v[22:23], v[154:155], v[76:77] neg_lo:[0,1] neg_hi:[0,1]
	v_pk_add_f32 v[14:15], v[132:133], v[14:15]
	v_mov_b32_e32 v137, v17
	v_pk_add_f32 v[16:17], v[140:141], v[102:103] neg_lo:[0,1] neg_hi:[0,1]
	v_pk_mul_f32 v[122:123], v[170:171], s[10:11]
	v_pk_add_f32 v[24:25], v[94:95], v[24:25]
	v_pk_add_f32 v[12:13], v[118:119], v[12:13]
	v_mov_b32_e32 v153, v23
	v_pk_add_f32 v[14:15], v[136:137], v[14:15]
	v_mov_b32_e32 v143, v17
	v_pk_add_f32 v[16:17], v[144:145], v[108:109] neg_lo:[0,1] neg_hi:[0,1]
	v_mul_f32_e32 v26, 0x3f116cb1, v50
	v_pk_add_f32 v[24:25], v[158:159], v[24:25]
	v_pk_add_f32 v[12:13], v[152:153], v[12:13]
	v_mov_b32_e32 v157, v18
	v_pk_add_f32 v[14:15], v[142:143], v[14:15]
	v_mov_b32_e32 v147, v17
	v_pk_add_f32 v[16:17], v[150:151], v[122:123] neg_lo:[0,1] neg_hi:[0,1]
	v_add_f32_e32 v20, v20, v9
	s_mov_b32 s2, 0xbe750f2a
	ds_write2_b64 v37, v[24:25], v[12:13] offset0:2 offset1:3
	v_pk_add_f32 v[12:13], v[26:27], v[156:157]
	v_pk_add_f32 v[14:15], v[146:147], v[14:15]
	v_mov_b32_e32 v149, v17
	v_pk_mul_f32 v[52:53], v[52:53], s[2:3] op_sel_hi:[1,0]
	s_mov_b32 s2, 0x3eedf032
	v_pk_add_f32 v[12:13], v[12:13], v[20:21]
	v_pk_add_f32 v[14:15], v[148:149], v[14:15]
	v_pk_mul_f32 v[54:55], v[54:55], s[2:3] op_sel_hi:[1,0]
	s_mov_b32 s12, 0x3f62ad3f
	ds_write2_b64 v37, v[12:13], v[14:15] offset0:4 offset1:5
	v_pk_fma_f32 v[12:13], v[0:1], s[14:15], v[52:53] op_sel:[0,0,1] op_sel_hi:[1,0,0]
	v_pk_fma_f32 v[0:1], v[0:1], s[14:15], v[52:53] op_sel:[0,0,1] op_sel_hi:[1,0,0] neg_lo:[0,0,1] neg_hi:[0,0,1]
	s_mov_b32 s2, 0xbf29c268
	v_mov_b32_e32 v14, v12
	v_mov_b32_e32 v15, v1
	v_pk_fma_f32 v[16:17], v[44:45], s[12:13], v[54:55] op_sel:[0,0,1] op_sel_hi:[1,0,0]
	v_pk_fma_f32 v[18:19], v[44:45], s[12:13], v[54:55] op_sel:[0,0,1] op_sel_hi:[1,0,0] neg_lo:[0,0,1] neg_hi:[0,0,1]
	v_pk_mul_f32 v[56:57], v[56:57], s[2:3] op_sel_hi:[1,0]
	s_mov_b32 s10, 0xbf3f9e67
	v_pk_add_f32 v[14:15], v[10:11], v[14:15]
	v_mov_b32_e32 v20, v16
	v_mov_b32_e32 v21, v19
	s_mov_b32 s2, 0x3f52af12
	v_pk_add_f32 v[14:15], v[20:21], v[14:15]
	v_pk_fma_f32 v[20:21], v[42:43], s[10:11], v[56:57] op_sel:[0,0,1] op_sel_hi:[1,0,0]
	v_pk_fma_f32 v[22:23], v[42:43], s[10:11], v[56:57] op_sel:[0,0,1] op_sel_hi:[1,0,0] neg_lo:[0,0,1] neg_hi:[0,0,1]
	v_pk_mul_f32 v[58:59], v[58:59], s[2:3] op_sel_hi:[1,0]
	s_mov_b32 s8, 0x3f116cb1
	v_mov_b32_e32 v24, v20
	v_mov_b32_e32 v25, v23
	s_mov_b32 s2, 0xbf6f5d39
	v_pk_add_f32 v[14:15], v[24:25], v[14:15]
	v_pk_fma_f32 v[24:25], v[48:49], s[8:9], v[58:59] op_sel:[0,0,1] op_sel_hi:[1,0,0]
	v_pk_fma_f32 v[26:27], v[48:49], s[8:9], v[58:59] op_sel:[0,0,1] op_sel_hi:[1,0,0] neg_lo:[0,0,1] neg_hi:[0,0,1]
	v_mov_b32_e32 v1, v13
	v_pk_mul_f32 v[60:61], v[60:61], s[2:3] op_sel_hi:[1,0]
	s_mov_b32 s6, 0xbeb58ec6
	v_mov_b32_e32 v28, v24
	v_mov_b32_e32 v29, v27
	v_pk_add_f32 v[0:1], v[10:11], v[0:1]
	v_mov_b32_e32 v19, v17
	s_mov_b32 s2, 0x3f7e222b
	v_pk_add_f32 v[14:15], v[28:29], v[14:15]
	v_pk_fma_f32 v[28:29], v[46:47], s[6:7], v[60:61] op_sel:[0,0,1] op_sel_hi:[1,0,0]
	v_pk_fma_f32 v[30:31], v[46:47], s[6:7], v[60:61] op_sel:[0,0,1] op_sel_hi:[1,0,0] neg_lo:[0,0,1] neg_hi:[0,0,1]
	v_pk_add_f32 v[0:1], v[18:19], v[0:1]
	v_mov_b32_e32 v23, v21
	v_pk_mul_f32 v[64:65], v[64:65], s[2:3] op_sel_hi:[1,0]
	s_mov_b32 s2, 0x3df6dbef
	v_mov_b32_e32 v32, v28
	v_mov_b32_e32 v33, v31
	v_pk_add_f32 v[0:1], v[22:23], v[0:1]
	v_mov_b32_e32 v27, v25
	v_pk_add_f32 v[14:15], v[32:33], v[14:15]
	v_pk_fma_f32 v[32:33], v[50:51], s[2:3], v[64:65] op_sel:[0,0,1] op_sel_hi:[1,0,0]
	v_pk_fma_f32 v[42:43], v[50:51], s[2:3], v[64:65] op_sel:[0,0,1] op_sel_hi:[1,0,0] neg_lo:[0,0,1] neg_hi:[0,0,1]
	v_pk_add_f32 v[0:1], v[26:27], v[0:1]
	v_mov_b32_e32 v31, v29
	v_mov_b32_e32 v44, v32
	;; [unrolled: 1-line block ×3, first 2 shown]
	v_pk_add_f32 v[0:1], v[30:31], v[0:1]
	v_mov_b32_e32 v43, v33
	v_pk_add_f32 v[14:15], v[44:45], v[14:15]
	v_pk_add_f32 v[0:1], v[42:43], v[0:1]
	ds_write2_b64 v37, v[14:15], v[0:1] offset0:6 offset1:7
	ds_write_b64 v37, v[2:3] offset:64
	ds_write2_b32 v37, v38, v4 offset0:19 offset1:20
	v_mov_b32_e32 v1, v6
	ds_write2_b32 v37, v5, v6 offset0:21 offset1:22
	v_mov_b32_e32 v0, v7
	ds_write2_b32 v37, v7, v8 offset0:23 offset1:24
	ds_write2_b32 v37, v40, v39 offset0:18 offset1:25
.LBB0_15:
	s_or_b64 exec, exec, s[42:43]
	s_movk_i32 s2, 0x4f
	v_mul_lo_u16_sdwa v0, v36, s2 dst_sel:DWORD dst_unused:UNUSED_PAD src0_sel:BYTE_0 src1_sel:DWORD
	v_lshrrev_b16_e32 v9, 10, v0
	v_add_u32_e32 v26, 0xb6, v36
	v_mul_lo_u16_e32 v0, 13, v9
	s_movk_i32 s2, 0x4ec5
	v_sub_u16_e32 v27, v36, v0
	v_mul_u32_u24_sdwa v0, v26, s2 dst_sel:DWORD dst_unused:UNUSED_PAD src0_sel:WORD_0 src1_sel:DWORD
	v_lshrrev_b32_e32 v41, 18, v0
	v_mul_lo_u16_e32 v0, 13, v41
	v_sub_u16_e32 v46, v26, v0
	v_mul_u32_u24_e32 v0, 3, v46
	v_mov_b32_e32 v37, 3
	v_lshlrev_b32_e32 v14, 3, v0
	s_waitcnt lgkmcnt(0)
	s_barrier
	global_load_dwordx2 v[0:1], v14, s[4:5] offset:16
	global_load_dwordx4 v[10:13], v14, s[4:5]
	v_mul_u32_u24_sdwa v14, v27, v37 dst_sel:DWORD dst_unused:UNUSED_PAD src0_sel:BYTE_0 src1_sel:DWORD
	v_lshlrev_b32_e32 v18, 3, v14
	global_load_dwordx4 v[14:17], v18, s[4:5]
	global_load_dwordx2 v[32:33], v18, s[4:5] offset:16
	v_add_u32_e32 v22, 0xa00, v182
	v_add_u32_e32 v28, 0x1600, v182
	;; [unrolled: 1-line block ×3, first 2 shown]
	ds_read2_b64 v[18:21], v182 offset1:182
	ds_read2_b64 v[22:25], v22 offset0:44 offset1:226
	ds_read2_b64 v[28:31], v28 offset0:24 offset1:206
	;; [unrolled: 1-line block ×3, first 2 shown]
	v_add_u32_e32 v49, 0xc00, v182
	v_lshlrev_b32_sdwa v27, v37, v27 dst_sel:DWORD dst_unused:UNUSED_PAD src0_sel:DWORD src1_sel:BYTE_0
	v_lshlrev_b32_e32 v37, 3, v46
	s_waitcnt lgkmcnt(2)
	v_mov_b32_e32 v46, v25
	s_waitcnt lgkmcnt(0)
	v_mov_b32_e32 v48, v45
	v_mul_u32_u24_e32 v9, 0x1a0, v9
	v_mul_u32_u24_e32 v41, 0x1a0, v41
	v_add3_u32 v9, 0, v9, v27
	v_add3_u32 v27, 0, v41, v37
	s_barrier
	v_cmp_gt_u32_e32 vcc, 26, v36
	v_cmp_lt_u32_e64 s[2:3], 25, v36
	s_waitcnt vmcnt(3)
	v_pk_mul_f32 v[54:55], v[0:1], v[44:45] op_sel_hi:[1,0]
	s_waitcnt vmcnt(2)
	v_pk_mul_f32 v[50:51], v[10:11], v[24:25] op_sel_hi:[1,0]
	v_pk_mul_f32 v[52:53], v[12:13], v[30:31] op_sel:[0,1]
	s_waitcnt vmcnt(1)
	v_pk_mul_f32 v[56:57], v[14:15], v[22:23] op_sel:[0,1]
	v_pk_mul_f32 v[58:59], v[16:17], v[28:29] op_sel:[0,1]
	s_waitcnt vmcnt(0)
	v_pk_mul_f32 v[60:61], v[32:33], v[42:43] op_sel:[0,1]
	v_pk_fma_f32 v[46:47], v[10:11], v[46:47], v[50:51] op_sel:[0,0,1] op_sel_hi:[1,1,0] neg_lo:[0,0,1] neg_hi:[0,0,1]
	v_pk_fma_f32 v[10:11], v[10:11], v[24:25], v[50:51] op_sel:[0,1,1] op_sel_hi:[1,1,0]
	v_pk_fma_f32 v[24:25], v[12:13], v[30:31], v[52:53] op_sel:[0,0,1] op_sel_hi:[1,1,0]
	v_pk_fma_f32 v[12:13], v[12:13], v[30:31], v[52:53] op_sel:[0,0,1] op_sel_hi:[1,0,0] neg_lo:[1,0,0] neg_hi:[1,0,0]
	v_pk_fma_f32 v[30:31], v[0:1], v[48:49], v[54:55] op_sel:[0,0,1] op_sel_hi:[1,1,0] neg_lo:[0,0,1] neg_hi:[0,0,1]
	v_pk_fma_f32 v[0:1], v[0:1], v[44:45], v[54:55] op_sel:[0,1,1] op_sel_hi:[1,1,0]
	v_pk_fma_f32 v[44:45], v[14:15], v[22:23], v[56:57] op_sel:[0,0,1] op_sel_hi:[1,1,0]
	v_pk_fma_f32 v[14:15], v[14:15], v[22:23], v[56:57] op_sel:[0,0,1] op_sel_hi:[1,0,0] neg_lo:[1,0,0] neg_hi:[1,0,0]
	v_pk_fma_f32 v[22:23], v[16:17], v[28:29], v[58:59] op_sel:[0,0,1] op_sel_hi:[1,1,0]
	v_pk_fma_f32 v[16:17], v[16:17], v[28:29], v[58:59] op_sel:[0,0,1] op_sel_hi:[1,0,0] neg_lo:[1,0,0] neg_hi:[1,0,0]
	;; [unrolled: 2-line block ×3, first 2 shown]
	v_mov_b32_e32 v47, v11
	v_mov_b32_e32 v25, v13
	;; [unrolled: 1-line block ×6, first 2 shown]
	v_pk_add_f32 v[10:11], v[20:21], v[24:25] neg_lo:[0,1] neg_hi:[0,1]
	v_pk_add_f32 v[12:13], v[46:47], v[30:31] neg_lo:[0,1] neg_hi:[0,1]
	;; [unrolled: 1-line block ×4, first 2 shown]
	v_pk_add_f32 v[0:1], v[10:11], v[12:13]
	v_pk_add_f32 v[22:23], v[10:11], v[12:13] neg_lo:[0,1] neg_hi:[0,1]
	v_pk_fma_f32 v[18:19], v[18:19], 2.0, v[14:15] op_sel_hi:[1,0,1] neg_lo:[0,0,1] neg_hi:[0,0,1]
	v_pk_fma_f32 v[24:25], v[44:45], 2.0, v[16:17] op_sel_hi:[1,0,1] neg_lo:[0,0,1] neg_hi:[0,0,1]
	v_pk_add_f32 v[28:29], v[14:15], v[16:17] op_sel:[0,1] op_sel_hi:[1,0]
	v_pk_add_f32 v[16:17], v[14:15], v[16:17] op_sel:[0,1] op_sel_hi:[1,0] neg_lo:[0,1] neg_hi:[0,1]
	v_pk_fma_f32 v[20:21], v[20:21], 2.0, v[10:11] op_sel_hi:[1,0,1] neg_lo:[0,0,1] neg_hi:[0,0,1]
	v_pk_fma_f32 v[12:13], v[46:47], 2.0, v[12:13] op_sel_hi:[1,0,1] neg_lo:[0,0,1] neg_hi:[0,0,1]
	v_mov_b32_e32 v1, v23
	v_pk_add_f32 v[22:23], v[18:19], v[24:25] neg_lo:[0,1] neg_hi:[0,1]
	v_mov_b32_e32 v29, v17
	v_pk_add_f32 v[12:13], v[20:21], v[12:13] op_sel:[0,1] op_sel_hi:[1,0] neg_lo:[0,1] neg_hi:[0,1]
	v_pk_fma_f32 v[18:19], v[18:19], 2.0, v[22:23] op_sel_hi:[1,0,1] neg_lo:[0,0,1] neg_hi:[0,0,1]
	v_pk_fma_f32 v[14:15], v[14:15], 2.0, v[28:29] op_sel_hi:[1,0,1] neg_lo:[0,0,1] neg_hi:[0,0,1]
	;; [unrolled: 1-line block ×3, first 2 shown]
	ds_write2_b64 v9, v[22:23], v[28:29] offset0:26 offset1:39
	v_pk_fma_f32 v[10:11], v[10:11], 2.0, v[0:1] op_sel_hi:[1,0,1] neg_lo:[0,0,1] neg_hi:[0,0,1]
	ds_write2_b64 v9, v[18:19], v[14:15] offset1:13
	ds_write2_b64 v27, v[16:17], v[10:11] offset1:13
	ds_write2_b64 v27, v[12:13], v[0:1] offset0:26 offset1:39
	v_add_u32_e32 v9, 0x1a00, v182
	s_waitcnt lgkmcnt(0)
	s_barrier
	ds_read2_b64 v[12:15], v182 offset1:208
	ds_read2_b64 v[16:19], v49 offset0:32 offset1:240
	ds_read2_b64 v[20:23], v9 offset1:208
	ds_read_b64 v[24:25], v182 offset:9984
	s_and_saveexec_b64 s[6:7], s[2:3]
	s_xor_b64 s[2:3], exec, s[6:7]
	s_andn2_saveexec_b64 s[2:3], s[2:3]
	s_cbranch_execz .LBB0_17
; %bb.16:
	v_add_u32_e32 v4, 0x1000, v182
	v_add_u32_e32 v0, 0x500, v182
	ds_read2_b32 v[40:41], v4 offset0:172 offset1:173
	v_add_u32_e32 v4, 0x1800, v182
	v_add_u32_e32 v5, 0x2600, v182
	ds_read2_b64 v[0:3], v0 offset0:22 offset1:230
	ds_read2_b64 v[8:11], v5 offset0:6 offset1:214
	;; [unrolled: 1-line block ×3, first 2 shown]
	s_waitcnt lgkmcnt(3)
	v_mov_b32_e32 v38, v41
	s_waitcnt lgkmcnt(1)
	v_mov_b32_e32 v39, v9
.LBB0_17:
	s_or_b64 exec, exec, s[2:3]
	s_movk_i32 s2, 0x4f
	v_mul_lo_u16_sdwa v9, v36, s2 dst_sel:DWORD dst_unused:UNUSED_PAD src0_sel:BYTE_0 src1_sel:DWORD
	v_lshrrev_b16_e32 v9, 12, v9
	v_mul_lo_u16_e32 v27, 52, v9
	v_sub_u16_e32 v27, v36, v27
	v_mov_b32_e32 v28, 6
	v_mul_u32_u24_sdwa v28, v27, v28 dst_sel:DWORD dst_unused:UNUSED_PAD src0_sel:BYTE_0 src1_sel:DWORD
	v_lshlrev_b32_e32 v32, 3, v28
	global_load_dwordx4 v[28:31], v32, s[4:5] offset:328
	global_load_dwordx4 v[42:45], v32, s[4:5] offset:312
	;; [unrolled: 1-line block ×3, first 2 shown]
	s_waitcnt lgkmcnt(2)
	v_mov_b32_e32 v32, v19
	v_mov_b32_e32 v33, v18
	s_waitcnt lgkmcnt(1)
	v_mov_b32_e32 v50, v21
	v_mov_b32_e32 v51, v20
	;; [unrolled: 1-line block ×6, first 2 shown]
	s_waitcnt lgkmcnt(0)
	v_mov_b32_e32 v58, v25
	v_mul_u32_u24_e32 v9, 0xb60, v9
	v_lshlrev_b32_sdwa v19, v19, v27 dst_sel:DWORD dst_unused:UNUSED_PAD src0_sel:DWORD src1_sel:BYTE_0
	v_add3_u32 v9, 0, v9, v19
	s_mov_b32 s6, 0x3f08b237
	s_mov_b32 s14, 0x3d64c772
	;; [unrolled: 1-line block ×10, first 2 shown]
	s_barrier
	s_mov_b32 s10, 0xbf5ff5aa
	s_mov_b32 s12, 0x3f3bfb3b
	s_waitcnt vmcnt(2)
	v_pk_mul_f32 v[62:63], v[28:29], v[32:33]
	v_mov_b32_e32 v60, v29
	v_mov_b32_e32 v62, v31
	v_pk_mul_f32 v[64:65], v[30:31], v[50:51]
	s_waitcnt vmcnt(1)
	v_pk_mul_f32 v[66:67], v[42:43], v[14:15] op_sel_hi:[1,0]
	v_pk_mul_f32 v[68:69], v[44:45], v[16:17] op_sel_hi:[1,0]
	s_waitcnt vmcnt(0)
	v_pk_mul_f32 v[70:71], v[46:47], v[22:23] op_sel_hi:[1,0]
	v_pk_mul_f32 v[72:73], v[48:49], v[24:25] op_sel_hi:[1,0]
	;; [unrolled: 1-line block ×4, first 2 shown]
	v_pk_mul_f32 v[60:61], v[60:61], v[32:33]
	v_mov_b32_e32 v64, v63
	v_pk_mul_f32 v[62:63], v[62:63], v[50:51]
	v_pk_fma_f32 v[52:53], v[42:43], v[52:53], v[66:67] op_sel:[0,0,1] op_sel_hi:[1,1,0] neg_lo:[0,0,1] neg_hi:[0,0,1]
	v_pk_fma_f32 v[14:15], v[42:43], v[14:15], v[66:67] op_sel:[0,1,1] op_sel_hi:[1,1,0]
	v_pk_fma_f32 v[42:43], v[44:45], v[54:55], v[68:69] op_sel:[0,0,1] op_sel_hi:[1,1,0] neg_lo:[0,0,1] neg_hi:[0,0,1]
	v_pk_fma_f32 v[16:17], v[44:45], v[16:17], v[68:69] op_sel:[0,1,1] op_sel_hi:[1,1,0]
	;; [unrolled: 2-line block ×4, first 2 shown]
	v_mov_b32_e32 v74, v65
	v_mov_b32_e32 v53, v15
	;; [unrolled: 1-line block ×9, first 2 shown]
	v_pk_fma_f32 v[28:29], v[28:29], v[32:33], v[64:65] neg_lo:[0,0,1] neg_hi:[0,0,1]
	v_pk_fma_f32 v[30:31], v[30:31], v[50:51], v[74:75] neg_lo:[0,0,1] neg_hi:[0,0,1]
	v_pk_add_f32 v[14:15], v[52:53], v[46:47]
	v_pk_add_f32 v[22:23], v[42:43], v[44:45]
	;; [unrolled: 1-line block ×4, first 2 shown]
	v_pk_add_f32 v[24:25], v[42:43], v[44:45] neg_lo:[0,1] neg_hi:[0,1]
	v_mov_b32_e32 v33, v28
	v_mov_b32_e32 v43, v30
	;; [unrolled: 1-line block ×6, first 2 shown]
	v_pk_add_f32 v[16:17], v[52:53], v[46:47] neg_lo:[0,1] neg_hi:[0,1]
	v_pk_add_f32 v[52:53], v[18:19], v[20:21]
	v_pk_add_f32 v[28:29], v[30:31], v[28:29] neg_lo:[0,1] neg_hi:[0,1]
	v_pk_add_f32 v[30:31], v[32:33], v[42:43]
	v_mov_b32_e32 v45, v17
	v_mov_b32_e32 v46, v24
	;; [unrolled: 1-line block ×11, first 2 shown]
	v_pk_add_f32 v[32:33], v[44:45], v[46:47] neg_lo:[0,1] neg_hi:[0,1]
	v_pk_add_f32 v[42:43], v[48:49], v[50:51] neg_lo:[0,1] neg_hi:[0,1]
	;; [unrolled: 1-line block ×3, first 2 shown]
	v_mov_b32_e32 v48, v15
	v_mov_b32_e32 v49, v31
	v_mov_b32_e32 v18, v52
	v_pk_add_f32 v[30:31], v[30:31], v[52:53]
	v_pk_add_f32 v[28:29], v[28:29], v[24:25]
	v_pk_mul_f32 v[32:33], v[32:33], s[6:7]
	v_pk_add_f32 v[48:49], v[48:49], v[18:19] neg_lo:[0,1] neg_hi:[0,1]
	v_pk_add_f32 v[12:13], v[30:31], v[12:13]
	v_pk_mul_f32 v[44:45], v[44:45], s[14:15]
	v_pk_add_f32 v[28:29], v[28:29], v[16:17]
	v_pk_mul_f32 v[46:47], v[42:43], s[8:9]
	v_pk_mul_f32 v[50:51], v[48:49], s[18:19]
	v_pk_fma_f32 v[30:31], v[30:31], s[16:17], v[12:13] op_sel_hi:[1,0,1]
	v_pk_fma_f32 v[48:49], v[48:49], s[18:19], v[44:45]
	v_pk_fma_f32 v[42:43], v[42:43], s[8:9], v[32:33]
	v_pk_add_f32 v[48:49], v[48:49], v[30:31]
	v_pk_fma_f32 v[42:43], v[28:29], s[2:3], v[42:43] op_sel_hi:[1,0,1]
	v_mov_b32_e32 v18, v23
	v_pk_add_f32 v[52:53], v[48:49], v[42:43]
	v_pk_add_f32 v[42:43], v[48:49], v[42:43] neg_lo:[0,1] neg_hi:[0,1]
	v_mov_b32_e32 v48, v52
	v_mov_b32_e32 v49, v43
	;; [unrolled: 1-line block ×3, first 2 shown]
	ds_write2_b64 v9, v[12:13], v[48:49] offset1:52
	v_pk_add_f32 v[12:13], v[24:25], v[16:17] neg_lo:[0,1] neg_hi:[0,1]
	v_pk_add_f32 v[14:15], v[18:19], v[20:21] neg_lo:[0,1] neg_hi:[0,1]
	v_mov_b32_e32 v16, v50
	v_mov_b32_e32 v17, v45
	;; [unrolled: 1-line block ×6, first 2 shown]
	v_pk_fma_f32 v[16:17], v[14:15], s[12:13], v[16:17] op_sel_hi:[1,0,1] neg_lo:[1,0,1] neg_hi:[1,0,1]
	v_pk_fma_f32 v[18:19], v[12:13], s[10:11], v[18:19] op_sel_hi:[1,0,1] neg_lo:[1,0,1] neg_hi:[1,0,1]
	;; [unrolled: 1-line block ×4, first 2 shown]
	v_pk_add_f32 v[16:17], v[16:17], v[30:31]
	v_pk_fma_f32 v[18:19], v[28:29], s[2:3], v[18:19] op_sel_hi:[1,0,1]
	v_pk_add_f32 v[14:15], v[14:15], v[30:31]
	v_pk_fma_f32 v[12:13], v[28:29], s[2:3], v[12:13] op_sel_hi:[1,0,1]
	v_pk_add_f32 v[20:21], v[16:17], v[18:19]
	v_pk_add_f32 v[16:17], v[16:17], v[18:19] neg_lo:[0,1] neg_hi:[0,1]
	v_pk_add_f32 v[22:23], v[14:15], v[12:13] neg_lo:[0,1] neg_hi:[0,1]
	v_pk_add_f32 v[12:13], v[14:15], v[12:13]
	v_mov_b32_e32 v18, v20
	v_mov_b32_e32 v19, v17
	;; [unrolled: 1-line block ×4, first 2 shown]
	ds_write2_b64 v9, v[18:19], v[14:15] offset0:104 offset1:156
	v_mov_b32_e32 v13, v23
	v_mov_b32_e32 v17, v21
	v_add_u32_e32 v14, 0x400, v9
	v_mov_b32_e32 v43, v53
	ds_write2_b64 v14, v[12:13], v[16:17] offset0:80 offset1:132
	ds_write_b64 v9, v[42:43] offset:2496
	s_and_saveexec_b64 s[20:21], vcc
	s_cbranch_execz .LBB0_19
; %bb.18:
	s_movk_i32 s3, 0x4ec5
	v_mul_u32_u24_sdwa v9, v26, s3 dst_sel:DWORD dst_unused:UNUSED_PAD src0_sel:WORD_0 src1_sel:DWORD
	v_lshrrev_b32_e32 v9, 20, v9
	v_mul_lo_u16_e32 v9, 52, v9
	v_sub_u16_e32 v9, v26, v9
	v_mul_u32_u24_e32 v12, 6, v9
	v_lshlrev_b32_e32 v24, 3, v12
	global_load_dwordx4 v[12:15], v24, s[4:5] offset:328
	global_load_dwordx4 v[16:19], v24, s[4:5] offset:312
	;; [unrolled: 1-line block ×3, first 2 shown]
	v_mov_b32_e32 v24, v3
	v_mov_b32_e32 v26, v3
	v_mov_b32_e32 v28, v11
	v_mov_b32_e32 v30, v7
	v_mov_b32_e32 v32, v5
	v_lshl_add_u32 v37, v9, 3, 0
	v_add_u32_e32 v52, 0x2000, v37
	s_waitcnt vmcnt(2)
	v_mov_b32_e32 v42, v15
	v_mov_b32_e32 v43, v14
	s_waitcnt vmcnt(1)
	v_pk_mul_f32 v[2:3], v[2:3], v[16:17] op_sel_hi:[0,1]
	s_waitcnt vmcnt(0)
	v_pk_mul_f32 v[10:11], v[10:11], v[22:23] op_sel_hi:[0,1]
	v_pk_mul_f32 v[40:41], v[40:41], v[18:19] op_sel_hi:[0,1]
	;; [unrolled: 1-line block ×3, first 2 shown]
	v_pk_mul_f32 v[14:15], v[6:7], v[14:15]
	v_pk_mul_f32 v[44:45], v[4:5], v[12:13]
	v_pk_mul_f32 v[32:33], v[32:33], v[12:13] op_sel:[0,1] op_sel_hi:[1,0]
	v_pk_mul_f32 v[46:47], v[4:5], v[12:13] op_sel:[0,1] op_sel_hi:[1,0]
	v_pk_mul_f32 v[30:31], v[30:31], v[42:43]
	v_pk_mul_f32 v[48:49], v[6:7], v[42:43]
	v_pk_fma_f32 v[50:51], v[28:29], v[22:23], v[10:11] op_sel:[0,0,1] op_sel_hi:[0,1,0] neg_lo:[0,0,1] neg_hi:[0,0,1]
	v_pk_fma_f32 v[10:11], v[28:29], v[22:23], v[10:11] op_sel:[0,0,1] op_sel_hi:[0,1,0]
	v_pk_fma_f32 v[22:23], v[24:25], v[16:17], v[2:3] op_sel:[0,0,1] op_sel_hi:[1,1,0] neg_lo:[0,0,1] neg_hi:[0,0,1]
	v_pk_fma_f32 v[2:3], v[26:27], v[16:17], v[2:3] op_sel:[0,0,1] op_sel_hi:[0,1,0]
	;; [unrolled: 2-line block ×4, first 2 shown]
	v_mov_b32_e32 v46, v47
	v_mov_b32_e32 v2, v49
	;; [unrolled: 1-line block ×10, first 2 shown]
	v_pk_fma_f32 v[4:5], v[4:5], v[12:13], v[46:47] op_sel:[0,1,0] op_sel_hi:[1,0,1] neg_lo:[1,0,0] neg_hi:[1,0,0]
	v_pk_fma_f32 v[2:3], v[6:7], v[42:43], v[2:3] neg_lo:[1,0,0] neg_hi:[1,0,0]
	v_pk_add_f32 v[6:7], v[22:23], v[50:51]
	v_pk_add_f32 v[8:9], v[20:21], v[16:17]
	v_pk_add_f32 v[12:13], v[20:21], v[16:17] neg_lo:[0,1] neg_hi:[0,1]
	v_pk_add_f32 v[14:15], v[14:15], v[30:31]
	v_pk_add_f32 v[16:17], v[44:45], v[32:33]
	v_mov_b32_e32 v19, v4
	v_mov_b32_e32 v3, v14
	;; [unrolled: 1-line block ×6, first 2 shown]
	v_pk_add_f32 v[10:11], v[22:23], v[50:51] neg_lo:[0,1] neg_hi:[0,1]
	v_pk_add_f32 v[28:29], v[16:17], v[14:15]
	v_pk_add_f32 v[2:3], v[2:3], v[4:5] neg_lo:[0,1] neg_hi:[0,1]
	v_pk_add_f32 v[4:5], v[18:19], v[26:27]
	v_mov_b32_e32 v23, v13
	v_pk_add_f32 v[30:31], v[12:13], v[10:11] neg_lo:[0,1] neg_hi:[0,1]
	v_mov_b32_e32 v22, v2
	v_pk_add_f32 v[18:19], v[2:3], v[12:13]
	v_mov_b32_e32 v24, v2
	v_mov_b32_e32 v2, v12
	v_pk_add_f32 v[12:13], v[4:5], v[28:29]
	v_mov_b32_e32 v4, v7
	v_mov_b32_e32 v29, v17
	;; [unrolled: 1-line block ×4, first 2 shown]
	v_pk_add_f32 v[10:11], v[18:19], v[10:11]
	v_pk_add_f32 v[18:19], v[4:5], v[28:29] neg_lo:[0,1] neg_hi:[0,1]
	v_mov_b32_e32 v29, v15
	v_mov_b32_e32 v4, v9
	;; [unrolled: 1-line block ×3, first 2 shown]
	v_pk_add_f32 v[2:3], v[24:25], v[2:3] neg_lo:[0,1] neg_hi:[0,1]
	v_pk_add_f32 v[4:5], v[28:29], v[4:5] neg_lo:[0,1] neg_hi:[0,1]
	;; [unrolled: 1-line block ×3, first 2 shown]
	v_pk_add_f32 v[0:1], v[0:1], v[12:13]
	v_pk_mul_f32 v[2:3], v[2:3], s[6:7]
	v_pk_mul_f32 v[4:5], v[4:5], s[14:15]
	;; [unrolled: 1-line block ×4, first 2 shown]
	v_pk_fma_f32 v[12:13], v[12:13], s[16:17], v[0:1] op_sel_hi:[1,0,1]
	v_pk_fma_f32 v[20:21], v[20:21], s[8:9], v[2:3]
	v_pk_fma_f32 v[18:19], v[18:19], s[18:19], v[4:5]
	v_pk_fma_f32 v[20:21], v[10:11], s[2:3], v[20:21] op_sel_hi:[1,0,1]
	v_pk_add_f32 v[18:19], v[18:19], v[12:13]
	v_mov_b32_e32 v16, v9
	v_pk_add_f32 v[28:29], v[18:19], v[20:21]
	v_pk_add_f32 v[18:19], v[18:19], v[20:21] neg_lo:[0,1] neg_hi:[0,1]
	v_mov_b32_e32 v20, v28
	v_mov_b32_e32 v21, v19
	;; [unrolled: 1-line block ×5, first 2 shown]
	ds_write2_b64 v52, v[0:1], v[20:21] offset0:68 offset1:120
	v_pk_add_f32 v[0:1], v[16:17], v[14:15] neg_lo:[0,1] neg_hi:[0,1]
	v_mov_b32_e32 v6, v24
	v_mov_b32_e32 v7, v5
	;; [unrolled: 1-line block ×4, first 2 shown]
	v_pk_fma_f32 v[26:27], v[30:31], s[10:11], v[26:27] op_sel_hi:[1,0,1] neg_lo:[1,0,1] neg_hi:[1,0,1]
	v_pk_fma_f32 v[6:7], v[0:1], s[12:13], v[6:7] op_sel_hi:[1,0,1] neg_lo:[1,0,1] neg_hi:[1,0,1]
	;; [unrolled: 1-line block ×4, first 2 shown]
	v_pk_fma_f32 v[26:27], v[10:11], s[2:3], v[26:27] op_sel_hi:[1,0,1]
	v_pk_add_f32 v[6:7], v[6:7], v[12:13]
	v_pk_fma_f32 v[2:3], v[10:11], s[2:3], v[2:3] op_sel_hi:[1,0,1]
	v_pk_add_f32 v[0:1], v[0:1], v[12:13]
	v_pk_add_f32 v[8:9], v[6:7], v[26:27]
	v_pk_add_f32 v[6:7], v[6:7], v[26:27] neg_lo:[0,1] neg_hi:[0,1]
	v_pk_add_f32 v[4:5], v[0:1], v[2:3] neg_lo:[0,1] neg_hi:[0,1]
	v_pk_add_f32 v[0:1], v[0:1], v[2:3]
	v_mov_b32_e32 v14, v8
	v_mov_b32_e32 v15, v7
	;; [unrolled: 1-line block ×4, first 2 shown]
	ds_write2_b64 v52, v[14:15], v[2:3] offset0:172 offset1:224
	v_mov_b32_e32 v1, v5
	v_mov_b32_e32 v7, v9
	v_add_u32_e32 v2, 0x2800, v37
	v_mov_b32_e32 v19, v29
	ds_write2_b64 v2, v[0:1], v[6:7] offset0:20 offset1:72
	ds_write_b64 v37, v[18:19] offset:11232
.LBB0_19:
	s_or_b64 exec, exec, s[20:21]
	v_mov_b32_e32 v37, 0
	v_lshl_add_u64 v[16:17], v[36:37], 3, s[4:5]
	s_movk_i32 s2, 0x1000
	v_add_co_u32_e32 v20, vcc, s2, v16
	s_waitcnt lgkmcnt(0)
	s_barrier
	global_load_dwordx2 v[18:19], v[16:17], off offset:2808
	v_addc_co_u32_e32 v21, vcc, 0, v17, vcc
	global_load_dwordx2 v[22:23], v[20:21], off offset:168
	v_add_u32_e32 v38, 0x1600, v182
	ds_read2_b64 v[0:3], v182 offset1:182
	v_add_u32_e32 v39, 0xa00, v182
	v_add_u32_e32 v40, 0x2000, v182
	ds_read2_b64 v[4:7], v38 offset0:24 offset1:206
	ds_read2_b64 v[8:11], v39 offset0:44 offset1:226
	ds_read2_b64 v[12:15], v40 offset0:68 offset1:250
	s_movk_i32 s2, 0x2000
	v_add_co_u32_e32 v16, vcc, s2, v16
	s_waitcnt lgkmcnt(0)
	s_nop 0
	v_addc_co_u32_e32 v17, vcc, 0, v17, vcc
	s_barrier
	s_add_u32 s2, s4, 0x2d18
	s_addc_u32 s3, s5, 0
	v_cmp_ne_u32_e32 vcc, 0, v36
	s_waitcnt vmcnt(1)
	v_pk_mul_f32 v[24:25], v[18:19], v[4:5] op_sel:[0,1]
	v_pk_mul_f32 v[26:27], v[18:19], v[12:13] op_sel:[0,1]
	v_pk_fma_f32 v[28:29], v[18:19], v[4:5], v[24:25] op_sel:[0,0,1] op_sel_hi:[1,1,0]
	v_pk_fma_f32 v[4:5], v[18:19], v[4:5], v[24:25] op_sel:[0,0,1] op_sel_hi:[1,0,0] neg_lo:[1,0,0] neg_hi:[1,0,0]
	s_waitcnt vmcnt(0)
	v_pk_mul_f32 v[24:25], v[22:23], v[6:7] op_sel:[0,1]
	v_pk_fma_f32 v[30:31], v[18:19], v[12:13], v[26:27] op_sel:[0,0,1] op_sel_hi:[1,1,0]
	v_pk_fma_f32 v[12:13], v[18:19], v[12:13], v[26:27] op_sel:[0,0,1] op_sel_hi:[1,0,0] neg_lo:[1,0,0] neg_hi:[1,0,0]
	v_pk_mul_f32 v[18:19], v[22:23], v[14:15] op_sel:[0,1]
	v_mov_b32_e32 v29, v5
	v_pk_fma_f32 v[4:5], v[22:23], v[6:7], v[24:25] op_sel:[0,0,1] op_sel_hi:[1,1,0]
	v_pk_fma_f32 v[6:7], v[22:23], v[6:7], v[24:25] op_sel:[0,0,1] op_sel_hi:[1,0,0] neg_lo:[1,0,0] neg_hi:[1,0,0]
	v_mov_b32_e32 v31, v13
	v_pk_fma_f32 v[12:13], v[22:23], v[14:15], v[18:19] op_sel:[0,0,1] op_sel_hi:[1,1,0]
	v_pk_fma_f32 v[14:15], v[22:23], v[14:15], v[18:19] op_sel:[0,0,1] op_sel_hi:[1,0,0] neg_lo:[1,0,0] neg_hi:[1,0,0]
	v_mov_b32_e32 v5, v7
	v_mov_b32_e32 v13, v15
	v_pk_add_f32 v[18:19], v[0:1], v[28:29] neg_lo:[0,1] neg_hi:[0,1]
	v_pk_add_f32 v[6:7], v[8:9], v[30:31] neg_lo:[0,1] neg_hi:[0,1]
	;; [unrolled: 1-line block ×4, first 2 shown]
	v_pk_fma_f32 v[0:1], v[0:1], 2.0, v[18:19] op_sel_hi:[1,0,1] neg_lo:[0,0,1] neg_hi:[0,0,1]
	v_pk_fma_f32 v[8:9], v[8:9], 2.0, v[6:7] op_sel_hi:[1,0,1] neg_lo:[0,0,1] neg_hi:[0,0,1]
	;; [unrolled: 1-line block ×4, first 2 shown]
	ds_write2_b64 v39, v[18:19], v[4:5] offset0:44 offset1:226
	ds_write2_b64 v40, v[6:7], v[12:13] offset0:68 offset1:250
	ds_write2_b64 v182, v[0:1], v[2:3] offset1:182
	ds_write2_b64 v38, v[8:9], v[10:11] offset0:24 offset1:206
	s_waitcnt lgkmcnt(0)
	s_barrier
	global_load_dwordx2 v[18:19], v[20:21], off offset:1624
	global_load_dwordx2 v[22:23], v[20:21], off offset:3080
	;; [unrolled: 1-line block ×4, first 2 shown]
	ds_read2_b64 v[0:3], v182 offset1:182
	ds_read2_b64 v[4:7], v38 offset0:24 offset1:206
	ds_read2_b64 v[8:11], v39 offset0:44 offset1:226
	;; [unrolled: 1-line block ×3, first 2 shown]
	s_waitcnt lgkmcnt(0)
	s_barrier
	s_waitcnt vmcnt(3)
	v_pk_mul_f32 v[16:17], v[18:19], v[4:5] op_sel:[0,1]
	s_waitcnt vmcnt(2)
	v_pk_mul_f32 v[20:21], v[22:23], v[6:7] op_sel:[0,1]
	;; [unrolled: 2-line block ×4, first 2 shown]
	v_pk_fma_f32 v[32:33], v[18:19], v[4:5], v[16:17] op_sel:[0,0,1] op_sel_hi:[1,1,0]
	v_pk_fma_f32 v[4:5], v[18:19], v[4:5], v[16:17] op_sel:[0,0,1] op_sel_hi:[1,0,0] neg_lo:[1,0,0] neg_hi:[1,0,0]
	v_pk_fma_f32 v[16:17], v[22:23], v[6:7], v[20:21] op_sel:[0,0,1] op_sel_hi:[1,1,0]
	v_pk_fma_f32 v[6:7], v[22:23], v[6:7], v[20:21] op_sel:[0,0,1] op_sel_hi:[1,0,0] neg_lo:[1,0,0] neg_hi:[1,0,0]
	;; [unrolled: 2-line block ×4, first 2 shown]
	v_mov_b32_e32 v33, v5
	v_mov_b32_e32 v17, v7
	;; [unrolled: 1-line block ×4, first 2 shown]
	v_pk_add_f32 v[4:5], v[0:1], v[32:33] neg_lo:[0,1] neg_hi:[0,1]
	v_pk_add_f32 v[6:7], v[2:3], v[16:17] neg_lo:[0,1] neg_hi:[0,1]
	;; [unrolled: 1-line block ×4, first 2 shown]
	v_pk_fma_f32 v[0:1], v[0:1], 2.0, v[4:5] op_sel_hi:[1,0,1] neg_lo:[0,0,1] neg_hi:[0,0,1]
	v_pk_fma_f32 v[2:3], v[2:3], 2.0, v[6:7] op_sel_hi:[1,0,1] neg_lo:[0,0,1] neg_hi:[0,0,1]
	;; [unrolled: 1-line block ×4, first 2 shown]
	ds_write2_b64 v38, v[4:5], v[6:7] offset0:24 offset1:206
	ds_write2_b64 v40, v[12:13], v[14:15] offset0:68 offset1:250
	ds_write2_b64 v182, v[0:1], v[2:3] offset1:182
	ds_write2_b64 v39, v[8:9], v[10:11] offset0:44 offset1:226
	s_waitcnt lgkmcnt(0)
	s_barrier
	ds_read_b64 v[6:7], v182
	v_lshlrev_b32_e32 v0, 3, v36
	v_sub_u32_e32 v8, 0, v0
	v_lshl_add_u64 v[0:1], v[36:37], 3, s[2:3]
                                        ; implicit-def: $vgpr5
                                        ; implicit-def: $vgpr2_vgpr3
	s_and_saveexec_b64 s[2:3], vcc
	s_xor_b64 s[2:3], exec, s[2:3]
	s_cbranch_execz .LBB0_21
; %bb.20:
	global_load_dwordx2 v[2:3], v[0:1], off
	ds_read_b64 v[4:5], v8 offset:11648
	v_mov_b32_e32 v11, 0.5
	v_mov_b32_e32 v12, v11
	s_waitcnt lgkmcnt(0)
	v_pk_add_f32 v[14:15], v[4:5], v[6:7]
	v_pk_add_f32 v[4:5], v[6:7], v[4:5] neg_lo:[0,1] neg_hi:[0,1]
	v_mov_b32_e32 v6, v15
	v_mov_b32_e32 v7, v4
	v_pk_mul_f32 v[6:7], v[6:7], 0.5 op_sel_hi:[1,0]
	s_waitcnt vmcnt(0)
	v_mov_b32_e32 v10, v3
	v_mov_b32_e32 v4, v7
	;; [unrolled: 1-line block ×4, first 2 shown]
	v_pk_mul_f32 v[4:5], v[10:11], v[4:5]
	v_pk_mul_f32 v[16:17], v[2:3], v[6:7] op_sel_hi:[0,1]
	v_pk_fma_f32 v[10:11], v[14:15], v[12:13], v[4:5]
	v_pk_fma_f32 v[12:13], v[14:15], v[12:13], v[4:5] neg_lo:[0,0,1] neg_hi:[0,0,1]
	v_pk_fma_f32 v[4:5], v[2:3], v[6:7], v[10:11] op_sel_hi:[0,1,1] neg_lo:[1,0,0] neg_hi:[1,0,0]
	v_pk_fma_f32 v[2:3], v[2:3], v[6:7], v[12:13] op_sel_hi:[0,1,1] neg_lo:[1,0,0] neg_hi:[1,0,0]
	v_add_f32_e32 v4, v10, v16
                                        ; implicit-def: $vgpr6_vgpr7
.LBB0_21:
	s_andn2_saveexec_b64 s[2:3], s[2:3]
	s_cbranch_execz .LBB0_23
; %bb.22:
	s_waitcnt lgkmcnt(0)
	v_mov_b32_e32 v2, v7
	v_pk_add_f32 v[2:3], v[6:7], v[2:3] neg_lo:[0,1] neg_hi:[0,1]
	v_add_f32_e32 v4, v7, v6
	v_mov_b32_e32 v3, 0
	ds_read_b32 v5, v3 offset:5828
	s_waitcnt lgkmcnt(0)
	v_xor_b32_e32 v5, 0x80000000, v5
	ds_write_b32 v3, v5 offset:5828
	v_mov_b32_e32 v5, v3
.LBB0_23:
	s_or_b64 exec, exec, s[2:3]
	s_waitcnt lgkmcnt(0)
	global_load_dwordx2 v[6:7], v[0:1], off offset:1456
	global_load_dwordx2 v[10:11], v[0:1], off offset:2912
	s_movk_i32 s2, 0x1000
	v_add_co_u32_e32 v0, vcc, s2, v0
	v_mov_b32_e32 v13, 0.5
	s_nop 0
	v_addc_co_u32_e32 v1, vcc, 0, v1, vcc
	global_load_dwordx2 v[0:1], v[0:1], off offset:272
	ds_write_b64 v182, v[4:5]
	ds_write_b64 v8, v[2:3] offset:11648
	ds_read_b64 v[2:3], v182 offset:1456
	ds_read_b64 v[4:5], v8 offset:10192
	v_mov_b32_e32 v14, v13
	s_waitcnt lgkmcnt(0)
	v_pk_add_f32 v[16:17], v[2:3], v[4:5]
	v_pk_add_f32 v[2:3], v[2:3], v[4:5] neg_lo:[0,1] neg_hi:[0,1]
	v_mov_b32_e32 v4, v17
	v_mov_b32_e32 v5, v2
	v_pk_mul_f32 v[4:5], v[4:5], 0.5 op_sel_hi:[1,0]
	s_waitcnt vmcnt(2)
	v_mov_b32_e32 v15, v7
	v_mov_b32_e32 v17, v4
	v_mov_b32_e32 v2, v5
	v_mov_b32_e32 v12, v7
	v_pk_mul_f32 v[14:15], v[16:17], v[14:15]
	s_nop 0
	v_pk_fma_f32 v[16:17], v[12:13], v[2:3], v[14:15] neg_lo:[1,0,0] neg_hi:[1,0,0]
	v_pk_fma_f32 v[2:3], v[12:13], v[2:3], v[14:15]
	v_pk_fma_f32 v[14:15], v[6:7], v[4:5], v[16:17] op_sel_hi:[0,1,1] neg_lo:[1,0,0] neg_hi:[1,0,0]
	v_pk_fma_f32 v[16:17], v[6:7], v[4:5], v[2:3] op_sel_hi:[0,1,1]
	v_pk_fma_f32 v[2:3], v[6:7], v[4:5], v[2:3] op_sel_hi:[0,1,1] neg_lo:[1,0,0] neg_hi:[1,0,0]
	v_mov_b32_e32 v17, v3
	ds_write_b64 v182, v[16:17] offset:1456
	ds_write_b64 v8, v[14:15] offset:10192
	ds_read_b64 v[2:3], v182 offset:2912
	ds_read_b64 v[4:5], v8 offset:8736
	v_mov_b32_e32 v6, v13
	s_waitcnt vmcnt(1)
	v_mov_b32_e32 v7, v11
	v_mov_b32_e32 v12, v11
	s_waitcnt lgkmcnt(0)
	v_pk_add_f32 v[14:15], v[2:3], v[4:5]
	v_pk_add_f32 v[2:3], v[2:3], v[4:5] neg_lo:[0,1] neg_hi:[0,1]
	v_mov_b32_e32 v4, v15
	v_mov_b32_e32 v5, v2
	v_pk_mul_f32 v[4:5], v[4:5], 0.5 op_sel_hi:[1,0]
	s_nop 0
	v_mov_b32_e32 v15, v4
	v_mov_b32_e32 v2, v5
	v_pk_mul_f32 v[6:7], v[14:15], v[6:7]
	s_nop 0
	v_pk_fma_f32 v[14:15], v[12:13], v[2:3], v[6:7] neg_lo:[1,0,0] neg_hi:[1,0,0]
	v_pk_fma_f32 v[2:3], v[12:13], v[2:3], v[6:7]
	v_pk_fma_f32 v[6:7], v[10:11], v[4:5], v[14:15] op_sel_hi:[0,1,1] neg_lo:[1,0,0] neg_hi:[1,0,0]
	v_pk_fma_f32 v[14:15], v[10:11], v[4:5], v[2:3] op_sel_hi:[0,1,1]
	v_pk_fma_f32 v[2:3], v[10:11], v[4:5], v[2:3] op_sel_hi:[0,1,1] neg_lo:[1,0,0] neg_hi:[1,0,0]
	v_mov_b32_e32 v15, v3
	ds_write_b64 v182, v[14:15] offset:2912
	ds_write_b64 v8, v[6:7] offset:8736
	ds_read_b64 v[2:3], v182 offset:4368
	ds_read_b64 v[4:5], v8 offset:7280
	v_mov_b32_e32 v6, v13
	s_waitcnt vmcnt(0)
	v_mov_b32_e32 v7, v1
	v_mov_b32_e32 v12, v1
	s_waitcnt lgkmcnt(0)
	v_pk_add_f32 v[10:11], v[2:3], v[4:5]
	v_pk_add_f32 v[2:3], v[2:3], v[4:5] neg_lo:[0,1] neg_hi:[0,1]
	v_mov_b32_e32 v4, v11
	v_mov_b32_e32 v5, v2
	v_pk_mul_f32 v[4:5], v[4:5], 0.5 op_sel_hi:[1,0]
	s_nop 0
	v_mov_b32_e32 v11, v4
	v_mov_b32_e32 v2, v5
	v_pk_mul_f32 v[6:7], v[10:11], v[6:7]
	s_nop 0
	v_pk_fma_f32 v[10:11], v[12:13], v[2:3], v[6:7] neg_lo:[1,0,0] neg_hi:[1,0,0]
	v_pk_fma_f32 v[2:3], v[12:13], v[2:3], v[6:7]
	v_pk_fma_f32 v[6:7], v[0:1], v[4:5], v[10:11] op_sel_hi:[0,1,1] neg_lo:[1,0,0] neg_hi:[1,0,0]
	v_pk_fma_f32 v[10:11], v[0:1], v[4:5], v[2:3] op_sel_hi:[0,1,1]
	v_pk_fma_f32 v[0:1], v[0:1], v[4:5], v[2:3] op_sel_hi:[0,1,1] neg_lo:[1,0,0] neg_hi:[1,0,0]
	v_mov_b32_e32 v11, v1
	ds_write_b64 v182, v[10:11] offset:4368
	ds_write_b64 v8, v[6:7] offset:7280
	s_waitcnt lgkmcnt(0)
	s_barrier
	s_and_saveexec_b64 s[2:3], s[0:1]
	s_cbranch_execz .LBB0_26
; %bb.24:
	ds_read2_b64 v[0:3], v182 offset1:182
	v_add_u32_e32 v4, 0xa00, v182
	ds_read2_b64 v[4:7], v4 offset0:44 offset1:226
	v_lshl_add_u64 v[8:9], v[36:37], 3, v[34:35]
	s_movk_i32 s0, 0xb5
	s_waitcnt lgkmcnt(1)
	global_store_dwordx2 v[8:9], v[0:1], off
	global_store_dwordx2 v[8:9], v[2:3], off offset:1456
	s_waitcnt lgkmcnt(0)
	global_store_dwordx2 v[8:9], v[4:5], off offset:2912
	v_add_u32_e32 v0, 0x1600, v182
	ds_read2_b64 v[0:3], v0 offset0:24 offset1:206
	v_add_co_u32_e32 v4, vcc, 0x1000, v8
	s_nop 1
	v_addc_co_u32_e32 v5, vcc, 0, v9, vcc
	global_store_dwordx2 v[4:5], v[6:7], off offset:272
	s_waitcnt lgkmcnt(0)
	global_store_dwordx2 v[4:5], v[0:1], off offset:1728
	global_store_dwordx2 v[4:5], v[2:3], off offset:3184
	v_add_u32_e32 v0, 0x2000, v182
	ds_read2_b64 v[0:3], v0 offset0:68 offset1:250
	v_add_co_u32_e32 v4, vcc, 0x2000, v8
	s_nop 1
	v_addc_co_u32_e32 v5, vcc, 0, v9, vcc
	v_cmp_eq_u32_e32 vcc, s0, v36
	s_waitcnt lgkmcnt(0)
	global_store_dwordx2 v[4:5], v[0:1], off offset:544
	global_store_dwordx2 v[4:5], v[2:3], off offset:2000
	s_and_b64 exec, exec, vcc
	s_cbranch_execz .LBB0_26
; %bb.25:
	v_mov_b32_e32 v0, 0
	ds_read_b64 v[0:1], v0 offset:11648
	v_add_co_u32_e32 v2, vcc, 0x2000, v34
	s_nop 1
	v_addc_co_u32_e32 v3, vcc, 0, v35, vcc
	s_waitcnt lgkmcnt(0)
	global_store_dwordx2 v[2:3], v[0:1], off offset:3456
.LBB0_26:
	s_endpgm
	.section	.rodata,"a",@progbits
	.p2align	6, 0x0
	.amdhsa_kernel fft_rtc_back_len1456_factors_13_4_7_2_2_wgs_182_tpt_182_halfLds_sp_ip_CI_unitstride_sbrr_R2C_dirReg
		.amdhsa_group_segment_fixed_size 0
		.amdhsa_private_segment_fixed_size 0
		.amdhsa_kernarg_size 88
		.amdhsa_user_sgpr_count 2
		.amdhsa_user_sgpr_dispatch_ptr 0
		.amdhsa_user_sgpr_queue_ptr 0
		.amdhsa_user_sgpr_kernarg_segment_ptr 1
		.amdhsa_user_sgpr_dispatch_id 0
		.amdhsa_user_sgpr_kernarg_preload_length 0
		.amdhsa_user_sgpr_kernarg_preload_offset 0
		.amdhsa_user_sgpr_private_segment_size 0
		.amdhsa_uses_dynamic_stack 0
		.amdhsa_enable_private_segment 0
		.amdhsa_system_sgpr_workgroup_id_x 1
		.amdhsa_system_sgpr_workgroup_id_y 0
		.amdhsa_system_sgpr_workgroup_id_z 0
		.amdhsa_system_sgpr_workgroup_info 0
		.amdhsa_system_vgpr_workitem_id 0
		.amdhsa_next_free_vgpr 184
		.amdhsa_next_free_sgpr 60
		.amdhsa_accum_offset 184
		.amdhsa_reserve_vcc 1
		.amdhsa_float_round_mode_32 0
		.amdhsa_float_round_mode_16_64 0
		.amdhsa_float_denorm_mode_32 3
		.amdhsa_float_denorm_mode_16_64 3
		.amdhsa_dx10_clamp 1
		.amdhsa_ieee_mode 1
		.amdhsa_fp16_overflow 0
		.amdhsa_tg_split 0
		.amdhsa_exception_fp_ieee_invalid_op 0
		.amdhsa_exception_fp_denorm_src 0
		.amdhsa_exception_fp_ieee_div_zero 0
		.amdhsa_exception_fp_ieee_overflow 0
		.amdhsa_exception_fp_ieee_underflow 0
		.amdhsa_exception_fp_ieee_inexact 0
		.amdhsa_exception_int_div_zero 0
	.end_amdhsa_kernel
	.text
.Lfunc_end0:
	.size	fft_rtc_back_len1456_factors_13_4_7_2_2_wgs_182_tpt_182_halfLds_sp_ip_CI_unitstride_sbrr_R2C_dirReg, .Lfunc_end0-fft_rtc_back_len1456_factors_13_4_7_2_2_wgs_182_tpt_182_halfLds_sp_ip_CI_unitstride_sbrr_R2C_dirReg
                                        ; -- End function
	.section	.AMDGPU.csdata,"",@progbits
; Kernel info:
; codeLenInByte = 8884
; NumSgprs: 66
; NumVgprs: 184
; NumAgprs: 0
; TotalNumVgprs: 184
; ScratchSize: 0
; MemoryBound: 0
; FloatMode: 240
; IeeeMode: 1
; LDSByteSize: 0 bytes/workgroup (compile time only)
; SGPRBlocks: 8
; VGPRBlocks: 22
; NumSGPRsForWavesPerEU: 66
; NumVGPRsForWavesPerEU: 184
; AccumOffset: 184
; Occupancy: 2
; WaveLimiterHint : 1
; COMPUTE_PGM_RSRC2:SCRATCH_EN: 0
; COMPUTE_PGM_RSRC2:USER_SGPR: 2
; COMPUTE_PGM_RSRC2:TRAP_HANDLER: 0
; COMPUTE_PGM_RSRC2:TGID_X_EN: 1
; COMPUTE_PGM_RSRC2:TGID_Y_EN: 0
; COMPUTE_PGM_RSRC2:TGID_Z_EN: 0
; COMPUTE_PGM_RSRC2:TIDIG_COMP_CNT: 0
; COMPUTE_PGM_RSRC3_GFX90A:ACCUM_OFFSET: 45
; COMPUTE_PGM_RSRC3_GFX90A:TG_SPLIT: 0
	.text
	.p2alignl 6, 3212836864
	.fill 256, 4, 3212836864
	.type	__hip_cuid_d4d0c24f624c224b,@object ; @__hip_cuid_d4d0c24f624c224b
	.section	.bss,"aw",@nobits
	.globl	__hip_cuid_d4d0c24f624c224b
__hip_cuid_d4d0c24f624c224b:
	.byte	0                               ; 0x0
	.size	__hip_cuid_d4d0c24f624c224b, 1

	.ident	"AMD clang version 19.0.0git (https://github.com/RadeonOpenCompute/llvm-project roc-6.4.0 25133 c7fe45cf4b819c5991fe208aaa96edf142730f1d)"
	.section	".note.GNU-stack","",@progbits
	.addrsig
	.addrsig_sym __hip_cuid_d4d0c24f624c224b
	.amdgpu_metadata
---
amdhsa.kernels:
  - .agpr_count:     0
    .args:
      - .actual_access:  read_only
        .address_space:  global
        .offset:         0
        .size:           8
        .value_kind:     global_buffer
      - .offset:         8
        .size:           8
        .value_kind:     by_value
      - .actual_access:  read_only
        .address_space:  global
        .offset:         16
        .size:           8
        .value_kind:     global_buffer
      - .actual_access:  read_only
        .address_space:  global
        .offset:         24
        .size:           8
        .value_kind:     global_buffer
      - .offset:         32
        .size:           8
        .value_kind:     by_value
      - .actual_access:  read_only
        .address_space:  global
        .offset:         40
        .size:           8
        .value_kind:     global_buffer
      - .actual_access:  read_only
        .address_space:  global
        .offset:         48
        .size:           8
        .value_kind:     global_buffer
      - .offset:         56
        .size:           4
        .value_kind:     by_value
      - .actual_access:  read_only
        .address_space:  global
        .offset:         64
        .size:           8
        .value_kind:     global_buffer
      - .actual_access:  read_only
        .address_space:  global
        .offset:         72
        .size:           8
        .value_kind:     global_buffer
      - .address_space:  global
        .offset:         80
        .size:           8
        .value_kind:     global_buffer
    .group_segment_fixed_size: 0
    .kernarg_segment_align: 8
    .kernarg_segment_size: 88
    .language:       OpenCL C
    .language_version:
      - 2
      - 0
    .max_flat_workgroup_size: 182
    .name:           fft_rtc_back_len1456_factors_13_4_7_2_2_wgs_182_tpt_182_halfLds_sp_ip_CI_unitstride_sbrr_R2C_dirReg
    .private_segment_fixed_size: 0
    .sgpr_count:     66
    .sgpr_spill_count: 0
    .symbol:         fft_rtc_back_len1456_factors_13_4_7_2_2_wgs_182_tpt_182_halfLds_sp_ip_CI_unitstride_sbrr_R2C_dirReg.kd
    .uniform_work_group_size: 1
    .uses_dynamic_stack: false
    .vgpr_count:     184
    .vgpr_spill_count: 0
    .wavefront_size: 64
amdhsa.target:   amdgcn-amd-amdhsa--gfx950
amdhsa.version:
  - 1
  - 2
...

	.end_amdgpu_metadata
